;; amdgpu-corpus repo=ROCm/rocFFT kind=compiled arch=gfx1030 opt=O3
	.text
	.amdgcn_target "amdgcn-amd-amdhsa--gfx1030"
	.amdhsa_code_object_version 6
	.protected	bluestein_single_back_len187_dim1_half_op_CI_CI ; -- Begin function bluestein_single_back_len187_dim1_half_op_CI_CI
	.globl	bluestein_single_back_len187_dim1_half_op_CI_CI
	.p2align	8
	.type	bluestein_single_back_len187_dim1_half_op_CI_CI,@function
bluestein_single_back_len187_dim1_half_op_CI_CI: ; @bluestein_single_back_len187_dim1_half_op_CI_CI
; %bb.0:
	s_load_dwordx4 s[0:3], s[4:5], 0x28
	v_mul_u32_u24_e32 v1, 0xf10, v0
	v_lshrrev_b32_e32 v1, 16, v1
	v_mad_u64_u32 v[8:9], null, s6, 7, v[1:2]
	v_mov_b32_e32 v9, 0
	s_waitcnt lgkmcnt(0)
	v_cmp_gt_u64_e32 vcc_lo, s[0:1], v[8:9]
	s_and_saveexec_b32 s0, vcc_lo
	s_cbranch_execz .LBB0_15
; %bb.1:
	v_mul_hi_u32 v2, 0x24924925, v8
	v_mul_lo_u16 v1, v1, 17
	s_clause 0x1
	s_load_dwordx2 s[12:13], s[4:5], 0x0
	s_load_dwordx2 s[14:15], s[4:5], 0x38
	v_sub_nc_u16 v0, v0, v1
	v_sub_nc_u32_e32 v3, v8, v2
	v_and_b32_e32 v29, 0xffff, v0
	v_cmp_gt_u16_e32 vcc_lo, 11, v0
	v_lshrrev_b32_e32 v3, 1, v3
	v_lshlrev_b32_e32 v28, 2, v29
	v_or_b32_e32 v27, 0xb0, v29
	v_add_nc_u32_e32 v2, v3, v2
	v_lshrrev_b32_e32 v2, 2, v2
	v_mul_lo_u32 v2, v2, 7
	v_sub_nc_u32_e32 v1, v8, v2
	v_mul_u32_u24_e32 v13, 0xbb, v1
	v_lshlrev_b32_e32 v31, 2, v13
	s_and_saveexec_b32 s1, vcc_lo
	s_cbranch_execz .LBB0_3
; %bb.2:
	s_load_dwordx2 s[6:7], s[4:5], 0x18
	v_lshl_add_u32 v40, v29, 2, v31
	v_add_nc_u32_e32 v43, v31, v28
	s_waitcnt lgkmcnt(0)
	s_load_dwordx4 s[8:11], s[6:7], 0x0
	s_waitcnt lgkmcnt(0)
	v_mad_u64_u32 v[0:1], null, s10, v8, 0
	v_mad_u64_u32 v[2:3], null, s8, v29, 0
	;; [unrolled: 1-line block ×3, first 2 shown]
	s_mul_i32 s0, s9, 44
	s_mul_hi_u32 s6, s8, 44
	s_mul_i32 s7, s8, 44
	s_add_i32 s6, s6, s0
	v_mad_u64_u32 v[6:7], null, s11, v8, v[1:2]
	v_mad_u64_u32 v[9:10], null, s9, v29, v[3:4]
	s_clause 0x2
	global_load_dword v7, v28, s[12:13]
	global_load_dword v12, v28, s[12:13] offset:44
	global_load_dword v14, v28, s[12:13] offset:88
	v_mad_u64_u32 v[10:11], null, s9, v27, v[5:6]
	v_mov_b32_e32 v1, v6
	v_mov_b32_e32 v3, v9
	global_load_dword v6, v28, s[12:13] offset:704
	v_lshlrev_b64 v[0:1], 2, v[0:1]
	v_mov_b32_e32 v5, v10
	v_lshlrev_b64 v[2:3], 2, v[2:3]
	v_add_co_u32 v9, s0, s2, v0
	v_add_co_ci_u32_e64 v10, s0, s3, v1, s0
	v_lshlrev_b64 v[0:1], 2, v[4:5]
	v_add_co_u32 v2, s0, v9, v2
	v_add_co_ci_u32_e64 v3, s0, v10, v3, s0
	v_add_co_u32 v0, s0, v9, v0
	v_add_co_ci_u32_e64 v1, s0, v10, v1, s0
	s_clause 0x1
	global_load_dword v4, v[2:3], off
	global_load_dword v5, v[0:1], off
	v_add_co_u32 v2, s0, v2, s7
	v_add_co_ci_u32_e64 v3, s0, s6, v3, s0
	v_add_co_u32 v0, s0, v2, s7
	v_add_co_ci_u32_e64 v1, s0, s6, v3, s0
	s_clause 0x1
	global_load_dword v9, v[2:3], off
	global_load_dword v10, v[0:1], off
	v_add_co_u32 v2, s0, v0, s7
	v_add_co_ci_u32_e64 v3, s0, s6, v1, s0
	v_add_co_u32 v0, s0, v2, s7
	v_add_co_ci_u32_e64 v1, s0, s6, v3, s0
	global_load_dword v11, v28, s[12:13] offset:132
	s_clause 0x1
	global_load_dword v15, v[2:3], off
	global_load_dword v16, v[0:1], off
	v_add_co_u32 v0, s0, v0, s7
	v_add_co_ci_u32_e64 v1, s0, s6, v1, s0
	s_clause 0x3
	global_load_dword v17, v28, s[12:13] offset:176
	global_load_dword v18, v28, s[12:13] offset:220
	global_load_dword v19, v28, s[12:13] offset:264
	global_load_dword v20, v28, s[12:13] offset:308
	v_add_co_u32 v2, s0, v0, s7
	v_add_co_ci_u32_e64 v3, s0, s6, v1, s0
	global_load_dword v21, v[0:1], off
	v_add_co_u32 v0, s0, v2, s7
	v_add_co_ci_u32_e64 v1, s0, s6, v3, s0
	global_load_dword v22, v[2:3], off
	;; [unrolled: 3-line block ×3, first 2 shown]
	v_add_co_u32 v0, s0, v2, s7
	v_add_co_ci_u32_e64 v1, s0, s6, v3, s0
	global_load_dword v24, v28, s[12:13] offset:352
	global_load_dword v25, v[2:3], off
	global_load_dword v26, v[0:1], off
	v_add_co_u32 v0, s0, v0, s7
	v_add_co_ci_u32_e64 v1, s0, s6, v1, s0
	s_clause 0x3
	global_load_dword v30, v28, s[12:13] offset:396
	global_load_dword v32, v28, s[12:13] offset:440
	;; [unrolled: 1-line block ×4, first 2 shown]
	v_add_co_u32 v2, s0, v0, s7
	v_add_co_ci_u32_e64 v3, s0, s6, v1, s0
	global_load_dword v35, v[0:1], off
	v_add_co_u32 v0, s0, v2, s7
	v_add_co_ci_u32_e64 v1, s0, s6, v3, s0
	global_load_dword v36, v[2:3], off
	;; [unrolled: 3-line block ×4, first 2 shown]
	v_add_co_u32 v2, s0, v0, s7
	v_add_co_ci_u32_e64 v3, s0, s6, v1, s0
	global_load_dword v39, v28, s[12:13] offset:572
	global_load_dword v0, v[0:1], off
	global_load_dword v1, v[2:3], off
	s_clause 0x1
	global_load_dword v2, v28, s[12:13] offset:616
	global_load_dword v3, v28, s[12:13] offset:660
	s_waitcnt vmcnt(29)
	v_lshrrev_b32_e32 v41, 16, v4
	v_mul_f16_sdwa v42, v7, v4 dst_sel:DWORD dst_unused:UNUSED_PAD src0_sel:WORD_1 src1_sel:DWORD
	s_waitcnt vmcnt(28)
	v_lshrrev_b32_e32 v44, 16, v5
	v_mul_f16_sdwa v45, v6, v5 dst_sel:DWORD dst_unused:UNUSED_PAD src0_sel:WORD_1 src1_sel:DWORD
	v_mul_f16_sdwa v46, v7, v41 dst_sel:DWORD dst_unused:UNUSED_PAD src0_sel:WORD_1 src1_sel:DWORD
	v_fma_f16 v41, v7, v41, -v42
	v_mul_f16_sdwa v48, v6, v44 dst_sel:DWORD dst_unused:UNUSED_PAD src0_sel:WORD_1 src1_sel:DWORD
	v_fma_f16 v44, v6, v44, -v45
	v_fmac_f16_e32 v46, v7, v4
	s_waitcnt vmcnt(27)
	v_lshrrev_b32_e32 v42, 16, v9
	v_mul_f16_sdwa v47, v12, v9 dst_sel:DWORD dst_unused:UNUSED_PAD src0_sel:WORD_1 src1_sel:DWORD
	v_fmac_f16_e32 v48, v6, v5
	s_waitcnt vmcnt(26)
	v_mul_f16_sdwa v45, v14, v10 dst_sel:DWORD dst_unused:UNUSED_PAD src0_sel:WORD_1 src1_sel:DWORD
	v_pack_b32_f16 v5, v46, v41
	v_mul_f16_sdwa v4, v12, v42 dst_sel:DWORD dst_unused:UNUSED_PAD src0_sel:WORD_1 src1_sel:DWORD
	v_fma_f16 v7, v12, v42, -v47
	v_lshrrev_b32_e32 v42, 16, v10
	ds_write_b32 v40, v5
	v_fmac_f16_e32 v4, v12, v9
	v_mul_f16_sdwa v6, v14, v42 dst_sel:DWORD dst_unused:UNUSED_PAD src0_sel:WORD_1 src1_sel:DWORD
	s_waitcnt vmcnt(24)
	v_lshrrev_b32_e32 v12, 16, v15
	v_fma_f16 v9, v14, v42, -v45
	v_mul_f16_sdwa v41, v11, v15 dst_sel:DWORD dst_unused:UNUSED_PAD src0_sel:WORD_1 src1_sel:DWORD
	v_pack_b32_f16 v4, v4, v7
	v_fmac_f16_e32 v6, v14, v10
	v_mul_f16_sdwa v5, v11, v12 dst_sel:DWORD dst_unused:UNUSED_PAD src0_sel:WORD_1 src1_sel:DWORD
	s_waitcnt vmcnt(23)
	v_lshrrev_b32_e32 v7, 16, v16
	s_waitcnt vmcnt(22)
	v_mul_f16_sdwa v10, v17, v16 dst_sel:DWORD dst_unused:UNUSED_PAD src0_sel:WORD_1 src1_sel:DWORD
	v_fma_f16 v12, v11, v12, -v41
	v_pack_b32_f16 v6, v6, v9
	v_fmac_f16_e32 v5, v11, v15
	v_mul_f16_sdwa v9, v17, v7 dst_sel:DWORD dst_unused:UNUSED_PAD src0_sel:WORD_1 src1_sel:DWORD
	v_fma_f16 v7, v17, v7, -v10
	s_waitcnt vmcnt(18)
	v_lshrrev_b32_e32 v10, 16, v21
	v_mul_f16_sdwa v11, v18, v21 dst_sel:DWORD dst_unused:UNUSED_PAD src0_sel:WORD_1 src1_sel:DWORD
	ds_write2_b32 v43, v4, v6 offset0:11 offset1:22
	v_pack_b32_f16 v4, v5, v12
	v_fmac_f16_e32 v9, v17, v16
	v_mul_f16_sdwa v5, v18, v10 dst_sel:DWORD dst_unused:UNUSED_PAD src0_sel:WORD_1 src1_sel:DWORD
	s_waitcnt vmcnt(17)
	v_lshrrev_b32_e32 v6, 16, v22
	v_mul_f16_sdwa v12, v19, v22 dst_sel:DWORD dst_unused:UNUSED_PAD src0_sel:WORD_1 src1_sel:DWORD
	v_fma_f16 v10, v18, v10, -v11
	v_pack_b32_f16 v7, v9, v7
	v_fmac_f16_e32 v5, v18, v21
	v_mul_f16_sdwa v9, v19, v6 dst_sel:DWORD dst_unused:UNUSED_PAD src0_sel:WORD_1 src1_sel:DWORD
	s_waitcnt vmcnt(16)
	v_lshrrev_b32_e32 v11, 16, v23
	v_fma_f16 v6, v19, v6, -v12
	v_mul_f16_sdwa v12, v20, v23 dst_sel:DWORD dst_unused:UNUSED_PAD src0_sel:WORD_1 src1_sel:DWORD
	ds_write2_b32 v43, v4, v7 offset0:33 offset1:44
	v_pack_b32_f16 v4, v5, v10
	v_fmac_f16_e32 v9, v19, v22
	v_mul_f16_sdwa v5, v20, v11 dst_sel:DWORD dst_unused:UNUSED_PAD src0_sel:WORD_1 src1_sel:DWORD
	s_waitcnt vmcnt(14)
	v_lshrrev_b32_e32 v7, 16, v25
	v_mul_f16_sdwa v10, v24, v25 dst_sel:DWORD dst_unused:UNUSED_PAD src0_sel:WORD_1 src1_sel:DWORD
	v_fma_f16 v11, v20, v11, -v12
	v_pack_b32_f16 v6, v9, v6
	v_fmac_f16_e32 v5, v20, v23
	v_mul_f16_sdwa v9, v24, v7 dst_sel:DWORD dst_unused:UNUSED_PAD src0_sel:WORD_1 src1_sel:DWORD
	v_fma_f16 v7, v24, v7, -v10
	s_waitcnt vmcnt(13)
	v_lshrrev_b32_e32 v10, 16, v26
	s_waitcnt vmcnt(12)
	v_mul_f16_sdwa v12, v30, v26 dst_sel:DWORD dst_unused:UNUSED_PAD src0_sel:WORD_1 src1_sel:DWORD
	ds_write2_b32 v43, v4, v6 offset0:55 offset1:66
	v_pack_b32_f16 v4, v5, v11
	v_fmac_f16_e32 v9, v24, v25
	v_mul_f16_sdwa v5, v30, v10 dst_sel:DWORD dst_unused:UNUSED_PAD src0_sel:WORD_1 src1_sel:DWORD
	s_waitcnt vmcnt(8)
	v_lshrrev_b32_e32 v6, 16, v35
	v_mul_f16_sdwa v11, v32, v35 dst_sel:DWORD dst_unused:UNUSED_PAD src0_sel:WORD_1 src1_sel:DWORD
	v_fma_f16 v10, v30, v10, -v12
	v_pack_b32_f16 v7, v9, v7
	v_fmac_f16_e32 v5, v30, v26
	v_mul_f16_sdwa v9, v32, v6 dst_sel:DWORD dst_unused:UNUSED_PAD src0_sel:WORD_1 src1_sel:DWORD
	v_fma_f16 v6, v32, v6, -v11
	s_waitcnt vmcnt(7)
	v_lshrrev_b32_e32 v11, 16, v36
	v_mul_f16_sdwa v12, v33, v36 dst_sel:DWORD dst_unused:UNUSED_PAD src0_sel:WORD_1 src1_sel:DWORD
	v_pack_b32_f16 v5, v5, v10
	v_fmac_f16_e32 v9, v32, v35
	s_waitcnt vmcnt(6)
	v_lshrrev_b32_e32 v10, 16, v37
	v_mul_f16_sdwa v14, v33, v11 dst_sel:DWORD dst_unused:UNUSED_PAD src0_sel:WORD_1 src1_sel:DWORD
	v_fma_f16 v11, v33, v11, -v12
	v_mul_f16_sdwa v12, v34, v37 dst_sel:DWORD dst_unused:UNUSED_PAD src0_sel:WORD_1 src1_sel:DWORD
	v_pack_b32_f16 v6, v9, v6
	v_mul_f16_sdwa v9, v34, v10 dst_sel:DWORD dst_unused:UNUSED_PAD src0_sel:WORD_1 src1_sel:DWORD
	s_waitcnt vmcnt(5)
	v_lshrrev_b32_e32 v15, 16, v38
	s_waitcnt vmcnt(3)
	v_lshrrev_b32_e32 v16, 16, v0
	v_fma_f16 v10, v34, v10, -v12
	v_mul_f16_sdwa v12, v39, v38 dst_sel:DWORD dst_unused:UNUSED_PAD src0_sel:WORD_1 src1_sel:DWORD
	s_waitcnt vmcnt(2)
	v_lshrrev_b32_e32 v18, 16, v1
	v_mul_f16_sdwa v17, v39, v15 dst_sel:DWORD dst_unused:UNUSED_PAD src0_sel:WORD_1 src1_sel:DWORD
	s_waitcnt vmcnt(1)
	v_mul_f16_sdwa v19, v2, v16 dst_sel:DWORD dst_unused:UNUSED_PAD src0_sel:WORD_1 src1_sel:DWORD
	s_waitcnt vmcnt(0)
	v_mul_f16_sdwa v20, v3, v1 dst_sel:DWORD dst_unused:UNUSED_PAD src0_sel:WORD_1 src1_sel:DWORD
	v_fma_f16 v12, v39, v15, -v12
	v_mul_f16_sdwa v15, v2, v0 dst_sel:DWORD dst_unused:UNUSED_PAD src0_sel:WORD_1 src1_sel:DWORD
	v_mul_f16_sdwa v21, v3, v18 dst_sel:DWORD dst_unused:UNUSED_PAD src0_sel:WORD_1 src1_sel:DWORD
	v_fmac_f16_e32 v14, v33, v36
	v_fmac_f16_e32 v9, v34, v37
	;; [unrolled: 1-line block ×3, first 2 shown]
	v_fma_f16 v15, v2, v16, -v15
	v_fmac_f16_e32 v19, v2, v0
	v_fma_f16 v0, v3, v18, -v20
	v_fmac_f16_e32 v21, v3, v1
	v_pack_b32_f16 v1, v14, v11
	v_pack_b32_f16 v2, v9, v10
	v_pack_b32_f16 v3, v17, v12
	v_pack_b32_f16 v9, v19, v15
	v_pack_b32_f16 v0, v21, v0
	v_pack_b32_f16 v10, v48, v44
	ds_write2_b32 v43, v4, v7 offset0:77 offset1:88
	ds_write2_b32 v43, v5, v6 offset0:99 offset1:110
	ds_write2_b32 v43, v1, v2 offset0:121 offset1:132
	ds_write2_b32 v43, v3, v9 offset0:143 offset1:154
	ds_write2_b32 v43, v0, v10 offset0:165 offset1:176
.LBB0_3:
	s_or_b32 exec_lo, exec_lo, s1
	s_clause 0x1
	s_load_dwordx2 s[2:3], s[4:5], 0x20
	s_load_dwordx2 s[0:1], s[4:5], 0x8
	s_waitcnt lgkmcnt(0)
	s_barrier
	buffer_gl0_inv
                                        ; implicit-def: $vgpr0
                                        ; implicit-def: $vgpr5
                                        ; implicit-def: $vgpr43
                                        ; implicit-def: $vgpr2
                                        ; implicit-def: $vgpr42
                                        ; implicit-def: $vgpr41
                                        ; implicit-def: $vgpr6
                                        ; implicit-def: $vgpr40
                                        ; implicit-def: $vgpr30
                                        ; implicit-def: $vgpr15
                                        ; implicit-def: $vgpr26
                                        ; implicit-def: $vgpr25
                                        ; implicit-def: $vgpr23
                                        ; implicit-def: $vgpr24
                                        ; implicit-def: $vgpr44
                                        ; implicit-def: $vgpr18
                                        ; implicit-def: $vgpr45
                                        ; implicit-def: $vgpr46
                                        ; implicit-def: $vgpr20
                                        ; implicit-def: $vgpr47
                                        ; implicit-def: $vgpr48
                                        ; implicit-def: $vgpr22
                                        ; implicit-def: $vgpr49
                                        ; implicit-def: $vgpr50
                                        ; implicit-def: $vgpr51
	s_and_saveexec_b32 s4, vcc_lo
	s_cbranch_execz .LBB0_5
; %bb.4:
	v_lshl_add_u32 v9, v13, 2, v28
	ds_read2_b32 v[0:1], v9 offset1:11
	ds_read2_b32 v[21:22], v9 offset0:22 offset1:33
	ds_read2_b32 v[19:20], v9 offset0:44 offset1:55
	;; [unrolled: 1-line block ×7, first 2 shown]
	ds_read_b32 v23, v9 offset:704
	s_waitcnt lgkmcnt(8)
	v_lshrrev_b32_e32 v51, 16, v1
	s_waitcnt lgkmcnt(7)
	v_lshrrev_b32_e32 v50, 16, v21
	v_lshrrev_b32_e32 v49, 16, v22
	s_waitcnt lgkmcnt(6)
	v_lshrrev_b32_e32 v48, 16, v19
	;; [unrolled: 3-line block ×8, first 2 shown]
.LBB0_5:
	s_or_b32 exec_lo, exec_lo, s4
	v_sub_f16_e32 v89, v51, v24
	v_add_f16_e32 v52, v23, v1
	v_sub_f16_e32 v95, v50, v25
	v_add_f16_e32 v53, v16, v21
	v_sub_f16_e32 v105, v49, v26
	v_mul_f16_e32 v59, 0xb964, v89
	v_mul_f16_e32 v68, 0xbb29, v89
	;; [unrolled: 1-line block ×4, first 2 shown]
	v_add_f16_e32 v54, v15, v22
	v_fmamk_f16 v9, v52, 0x39e9, v59
	v_fmamk_f16 v10, v52, 0x3722, v68
	v_mul_f16_e32 v61, 0xba62, v105
	v_fmamk_f16 v11, v53, 0x2de8, v62
	v_sub_f16_e32 v110, v48, v30
	v_add_f16_e32 v9, v9, v0
	v_fmamk_f16 v12, v53, 0xb8d2, v67
	v_add_f16_e32 v10, v10, v0
	v_mul_f16_e32 v66, 0x31e1, v105
	v_add_f16_e32 v55, v7, v19
	v_fmamk_f16 v14, v54, 0xb8d2, v61
	v_add_f16_e32 v9, v11, v9
	v_sub_f16_e32 v115, v47, v40
	v_mul_f16_e32 v64, 0xb1e1, v110
	v_add_f16_e32 v10, v12, v10
	v_fmamk_f16 v11, v54, 0xbbdd, v66
	v_mul_f16_e32 v69, 0x3bb2, v110
	v_add_f16_e32 v9, v14, v9
	v_fmamk_f16 v12, v55, 0xbbdd, v64
	v_add_f16_e32 v56, v6, v20
	v_mul_f16_e32 v63, 0x3836, v115
	v_add_f16_e32 v10, v11, v10
	v_fmamk_f16 v11, v55, 0xb461, v69
	v_mul_f16_e32 v71, 0x3964, v115
	v_sub_f16_e32 v126, v46, v41
	v_add_f16_e32 v9, v12, v9
	v_fmamk_f16 v12, v56, 0xbacd, v63
	v_add_f16_e32 v10, v11, v10
	v_fmamk_f16 v11, v56, 0x39e9, v71
	v_add_f16_e32 v57, v3, v17
	v_mul_f16_e32 v65, 0x3bb2, v126
	v_sub_f16_e32 v132, v45, v42
	v_mul_f16_e32 v75, 0xb5c8, v126
	v_add_f16_e32 v9, v12, v9
	v_add_f16_e32 v10, v11, v10
	v_fmamk_f16 v11, v57, 0xb461, v65
	v_add_f16_e32 v58, v2, v18
	v_mul_f16_e32 v72, 0x3b29, v132
	v_fmamk_f16 v12, v57, 0x3b76, v75
	v_mul_f16_e32 v77, 0xbbf7, v132
	v_add_f16_e32 v9, v11, v9
	v_mul_f16_e32 v99, 0xbbf7, v89
	v_fmamk_f16 v11, v58, 0x3722, v72
	v_add_f16_e32 v10, v12, v10
	v_fmamk_f16 v12, v58, 0x2de8, v77
	v_mul_f16_e32 v124, 0xbbb2, v89
	v_mul_f16_e32 v103, 0xb1e1, v95
	v_add_f16_e32 v9, v11, v9
	v_mul_f16_e32 v125, 0x3836, v95
	v_add_f16_e32 v11, v12, v10
	v_fmamk_f16 v10, v52, 0x2de8, v99
	v_fmamk_f16 v12, v52, 0xb461, v124
	v_sub_f16_e32 v139, v44, v43
	v_fmamk_f16 v14, v53, 0xbbdd, v103
	v_fmamk_f16 v32, v53, 0xbacd, v125
	v_add_f16_e32 v10, v10, v0
	v_add_f16_e32 v12, v12, v0
	v_mul_f16_e32 v100, 0x3bb2, v105
	v_mul_f16_e32 v120, 0x3964, v105
	v_add_f16_e32 v60, v5, v4
	v_mul_f16_e32 v76, 0x35c8, v139
	v_add_f16_e32 v10, v14, v10
	v_add_f16_e32 v12, v32, v12
	v_fmamk_f16 v14, v54, 0xb461, v100
	v_fmamk_f16 v32, v54, 0x39e9, v120
	v_mul_f16_e32 v101, 0x35c8, v110
	v_mul_f16_e32 v121, 0xbb29, v110
	v_fmamk_f16 v33, v60, 0x3b76, v76
	v_add_f16_e32 v14, v14, v10
	v_add_f16_e32 v12, v32, v12
	v_fmamk_f16 v32, v55, 0x3b76, v101
	v_fmamk_f16 v34, v55, 0x3722, v121
	v_mul_f16_e32 v102, 0xbb29, v115
	v_mul_f16_e32 v122, 0xb1e1, v115
	v_add_f16_e32 v10, v33, v9
	v_add_f16_e32 v9, v32, v14
	;; [unrolled: 1-line block ×3, first 2 shown]
	v_fmamk_f16 v14, v56, 0x3722, v102
	v_fmamk_f16 v32, v56, 0xbbdd, v122
	v_mul_f16_e32 v96, 0xb836, v126
	v_mul_f16_e32 v123, 0x3bf7, v126
	;; [unrolled: 1-line block ×3, first 2 shown]
	v_add_f16_e32 v9, v14, v9
	v_add_f16_e32 v12, v32, v12
	v_fmamk_f16 v14, v57, 0xbacd, v96
	v_mul_f16_e32 v97, 0x3a62, v132
	v_fmamk_f16 v32, v57, 0x2de8, v123
	v_mul_f16_e32 v117, 0xb5c8, v132
	v_fmamk_f16 v33, v60, 0xbacd, v82
	v_add_f16_e32 v14, v14, v9
	v_fmamk_f16 v34, v58, 0xb8d2, v97
	v_add_f16_e32 v12, v32, v12
	v_fmamk_f16 v32, v58, 0x3b76, v117
	v_mul_f16_e32 v80, 0xb5c8, v89
	v_mul_f16_e32 v93, 0x3964, v139
	;; [unrolled: 1-line block ×3, first 2 shown]
	v_sub_f16_e32 v142, v1, v23
	v_add_f16_e32 v9, v33, v11
	v_add_f16_e32 v11, v34, v14
	;; [unrolled: 1-line block ×3, first 2 shown]
	v_fmamk_f16 v12, v52, 0x3b76, v80
	v_mul_f16_e32 v81, 0xb964, v95
	v_fmamk_f16 v32, v60, 0x39e9, v93
	v_fmamk_f16 v33, v60, 0xb8d2, v128
	v_add_f16_e32 v70, v24, v51
	v_mul_f16_e32 v84, 0xb5c8, v142
	v_sub_f16_e32 v149, v21, v16
	v_mul_f16_e32 v92, 0xb964, v142
	v_add_f16_e32 v34, v12, v0
	v_fmamk_f16 v35, v53, 0x39e9, v81
	v_add_f16_e32 v12, v32, v11
	v_add_f16_e32 v11, v33, v14
	v_fma_f16 v32, v70, 0x3b76, -v84
	v_add_f16_e32 v73, v25, v50
	v_mul_f16_e32 v111, 0xbb29, v142
	v_mul_f16_e32 v85, 0xb964, v149
	v_fma_f16 v33, v70, 0x39e9, -v92
	v_mul_f16_e32 v94, 0xbbf7, v149
	v_add_f16_e32 v14, v35, v34
	v_add_f16_sdwa v32, v32, v0 dst_sel:DWORD dst_unused:UNUSED_PAD src0_sel:DWORD src1_sel:WORD_1
	v_fma_f16 v34, v70, 0x3722, -v111
	v_fma_f16 v35, v73, 0x39e9, -v85
	v_mul_f16_e32 v113, 0xba62, v149
	v_add_f16_sdwa v33, v33, v0 dst_sel:DWORD dst_unused:UNUSED_PAD src0_sel:DWORD src1_sel:WORD_1
	v_fma_f16 v36, v73, 0x2de8, -v94
	v_mul_f16_e32 v136, 0xbbf7, v142
	v_mul_f16_e32 v158, 0xbbb2, v142
	v_add_f16_sdwa v34, v34, v0 dst_sel:DWORD dst_unused:UNUSED_PAD src0_sel:DWORD src1_sel:WORD_1
	v_fma_f16 v37, v73, 0xb8d2, -v113
	v_add_f16_e32 v32, v35, v32
	v_add_f16_e32 v33, v36, v33
	v_fma_f16 v35, v70, 0x2de8, -v136
	v_mul_f16_e32 v137, 0xb1e1, v149
	v_fma_f16 v36, v70, 0xb461, -v158
	v_mul_f16_e32 v178, 0xba62, v89
	v_mul_f16_e32 v165, 0x3836, v149
	v_add_f16_e32 v34, v37, v34
	v_add_f16_sdwa v35, v35, v0 dst_sel:DWORD dst_unused:UNUSED_PAD src0_sel:DWORD src1_sel:WORD_1
	v_fma_f16 v37, v73, 0xbbdd, -v137
	v_add_f16_sdwa v36, v36, v0 dst_sel:DWORD dst_unused:UNUSED_PAD src0_sel:DWORD src1_sel:WORD_1
	v_fmamk_f16 v38, v52, 0xb8d2, v178
	v_mul_f16_e32 v181, 0x3bb2, v95
	v_fma_f16 v39, v73, 0xbacd, -v165
	v_mul_f16_e32 v184, 0xba62, v142
	v_add_f16_e32 v35, v37, v35
	v_add_f16_e32 v37, v38, v0
	v_fmamk_f16 v38, v53, 0xb461, v181
	v_add_f16_e32 v36, v39, v36
	v_fma_f16 v39, v70, 0xb8d2, -v184
	v_mul_f16_e32 v185, 0x3bb2, v149
	v_mul_f16_e32 v87, 0xbb29, v105
	v_sub_f16_e32 v150, v22, v15
	v_add_f16_e32 v37, v38, v37
	v_add_f16_sdwa v38, v39, v0 dst_sel:DWORD dst_unused:UNUSED_PAD src0_sel:DWORD src1_sel:WORD_1
	v_fma_f16 v39, v73, 0xb461, -v185
	v_fmamk_f16 v78, v54, 0x3722, v87
	v_add_f16_e32 v74, v26, v49
	v_mul_f16_e32 v90, 0xbb29, v150
	v_mul_f16_e32 v106, 0xba62, v150
	v_add_f16_e32 v38, v39, v38
	v_add_f16_e32 v14, v78, v14
	v_mul_f16_e32 v127, 0x31e1, v150
	v_fma_f16 v39, v74, 0x3722, -v90
	v_fma_f16 v78, v74, 0xb8d2, -v106
	v_mul_f16_e32 v141, 0x3bb2, v150
	v_mul_f16_e32 v171, 0x3964, v150
	v_fma_f16 v79, v74, 0xbbdd, -v127
	v_add_f16_e32 v32, v39, v32
	v_add_f16_e32 v33, v78, v33
	v_fma_f16 v39, v74, 0xb461, -v141
	v_fma_f16 v78, v74, 0x39e9, -v171
	v_mul_f16_e32 v183, 0xb5c8, v105
	v_mul_f16_e32 v187, 0xb5c8, v150
	v_sub_f16_e32 v151, v19, v7
	v_add_f16_e32 v34, v79, v34
	v_add_f16_e32 v35, v39, v35
	;; [unrolled: 1-line block ×3, first 2 shown]
	v_fmamk_f16 v39, v54, 0x3b76, v183
	v_fma_f16 v79, v74, 0x3b76, -v187
	v_mul_f16_e32 v91, 0xbbf7, v110
	v_add_f16_e32 v78, v30, v48
	v_mul_f16_e32 v98, 0xbbf7, v151
	v_add_f16_e32 v37, v39, v37
	v_add_f16_e32 v38, v79, v38
	v_fmamk_f16 v39, v55, 0x2de8, v91
	v_mul_f16_e32 v112, 0xb1e1, v151
	v_fma_f16 v79, v78, 0x2de8, -v98
	v_mul_f16_e32 v131, 0x3bb2, v151
	v_mul_f16_e32 v144, 0x35c8, v151
	v_add_f16_e32 v14, v39, v14
	v_fma_f16 v39, v78, 0xbbdd, -v112
	v_add_f16_e32 v32, v79, v32
	v_fma_f16 v79, v78, 0xb461, -v131
	v_fma_f16 v83, v78, 0x3b76, -v144
	v_mul_f16_e32 v177, 0xbb29, v151
	v_mul_f16_e32 v188, 0xb836, v110
	v_sub_f16_e32 v153, v20, v6
	v_add_f16_e32 v33, v39, v33
	v_add_f16_e32 v34, v79, v34
	;; [unrolled: 1-line block ×3, first 2 shown]
	v_fma_f16 v39, v78, 0x3722, -v177
	v_fmamk_f16 v83, v55, 0xbacd, v188
	v_mul_f16_e32 v190, 0xb836, v151
	v_add_f16_e32 v79, v40, v47
	v_mul_f16_e32 v107, 0xbbb2, v153
	v_add_f16_e32 v36, v39, v36
	v_add_f16_e32 v37, v83, v37
	v_fma_f16 v39, v78, 0xbacd, -v190
	v_mul_f16_e32 v118, 0x3836, v153
	v_fma_f16 v83, v79, 0xb461, -v107
	v_mul_f16_e32 v134, 0x3964, v153
	v_mul_f16_e32 v104, 0xbbb2, v115
	v_add_f16_e32 v38, v39, v38
	v_fma_f16 v39, v79, 0xbacd, -v118
	v_add_f16_e32 v32, v83, v32
	v_mul_f16_e32 v156, 0xbb29, v153
	v_fma_f16 v83, v79, 0x39e9, -v134
	v_mul_f16_e32 v191, 0x3bf7, v115
	v_fmamk_f16 v86, v56, 0xb461, v104
	v_mul_f16_e32 v180, 0xb1e1, v153
	v_add_f16_e32 v33, v39, v33
	v_fma_f16 v39, v79, 0x3722, -v156
	v_add_f16_e32 v34, v83, v34
	v_fmamk_f16 v83, v56, 0x2de8, v191
	v_mul_f16_e32 v192, 0x3bf7, v153
	v_sub_f16_e32 v155, v17, v3
	v_add_f16_e32 v14, v86, v14
	v_fma_f16 v86, v79, 0xbbdd, -v180
	v_add_f16_e32 v35, v39, v35
	v_add_f16_e32 v37, v83, v37
	v_fma_f16 v39, v79, 0x2de8, -v192
	v_mul_f16_e32 v108, 0xba62, v126
	v_add_f16_e32 v83, v41, v46
	v_mul_f16_e32 v114, 0xba62, v155
	v_mul_f16_e32 v135, 0xb5c8, v155
	v_add_f16_e32 v36, v86, v36
	v_mul_f16_e32 v130, 0x3bb2, v155
	v_fmamk_f16 v86, v57, 0xb8d2, v108
	v_add_f16_e32 v38, v39, v38
	v_fma_f16 v39, v83, 0xb8d2, -v114
	v_fma_f16 v109, v83, 0x3b76, -v135
	v_mul_f16_e32 v170, 0xb836, v155
	v_mul_f16_e32 v182, 0x3bf7, v155
	v_fma_f16 v88, v83, 0xb461, -v130
	v_add_f16_e32 v14, v86, v14
	v_add_f16_e32 v32, v39, v32
	;; [unrolled: 1-line block ×3, first 2 shown]
	v_fma_f16 v39, v83, 0xbacd, -v170
	v_mul_f16_e32 v193, 0xb964, v126
	v_mul_f16_e32 v194, 0xb964, v155
	;; [unrolled: 1-line block ×3, first 2 shown]
	v_fma_f16 v86, v83, 0x2de8, -v182
	v_sub_f16_e32 v164, v18, v2
	v_add_f16_e32 v33, v88, v33
	v_add_f16_e32 v35, v39, v35
	v_fmamk_f16 v39, v57, 0x39e9, v193
	v_fma_f16 v88, v83, 0x39e9, -v194
	v_fmamk_f16 v116, v58, 0xbacd, v109
	v_add_f16_e32 v36, v86, v36
	v_add_f16_e32 v86, v42, v45
	v_mul_f16_e32 v119, 0xb836, v164
	v_mul_f16_e32 v133, 0x3b29, v164
	;; [unrolled: 1-line block ×4, first 2 shown]
	v_add_f16_e32 v37, v39, v37
	v_add_f16_e32 v38, v88, v38
	v_add_f16_e32 v14, v116, v14
	v_mul_f16_e32 v176, 0x3a62, v164
	v_fma_f16 v39, v86, 0xbacd, -v119
	v_fma_f16 v88, v86, 0x3722, -v133
	;; [unrolled: 1-line block ×4, first 2 shown]
	v_sub_f16_e32 v199, v4, v5
	v_fma_f16 v129, v86, 0xb8d2, -v176
	v_add_f16_e32 v32, v39, v32
	v_add_f16_e32 v39, v88, v33
	;; [unrolled: 1-line block ×4, first 2 shown]
	v_mul_f16_e32 v195, 0xb1e1, v132
	v_mul_f16_e32 v116, 0xb1e1, v139
	v_add_f16_e32 v88, v43, v44
	v_mul_f16_e32 v138, 0x35c8, v199
	v_add_f16_e32 v146, v129, v35
	v_mul_f16_e32 v196, 0xb1e1, v164
	v_mul_f16_e32 v129, 0xb1e1, v199
	v_fmamk_f16 v33, v58, 0xbbdd, v195
	v_fmamk_f16 v35, v60, 0xbbdd, v116
	v_fma_f16 v145, v88, 0x3b76, -v138
	v_fma_f16 v34, v86, 0xbbdd, -v196
	;; [unrolled: 1-line block ×3, first 2 shown]
	v_add_f16_e32 v148, v33, v37
	v_add_f16_e32 v33, v35, v14
	;; [unrolled: 1-line block ×3, first 2 shown]
	v_mul_f16_e32 v145, 0xb836, v199
	v_mul_f16_e32 v179, 0x3964, v199
	v_mul_f16_e32 v189, 0xba62, v199
	v_mul_f16_e32 v197, 0x3b29, v199
	v_mul_f16_e32 v198, 0x3b29, v139
	v_add_f16_e32 v152, v34, v38
	v_add_f16_e32 v34, v36, v32
	v_fma_f16 v14, v88, 0xbacd, -v145
	v_fma_f16 v32, v88, 0x39e9, -v179
	;; [unrolled: 1-line block ×4, first 2 shown]
	v_fmamk_f16 v154, v60, 0x3722, v198
	v_add_f16_e32 v36, v14, v143
	v_add_f16_e32 v37, v32, v146
	;; [unrolled: 1-line block ×5, first 2 shown]
	v_mul_lo_u16 v32, v29, 17
	s_barrier
	buffer_gl0_inv
	s_and_saveexec_b32 s4, vcc_lo
	s_cbranch_execz .LBB0_7
; %bb.6:
	v_mul_f16_e32 v159, 0xb1e1, v142
	v_mul_f16_e32 v172, 0x35c8, v149
	;; [unrolled: 1-line block ×5, first 2 shown]
	v_fmamk_f16 v143, v70, 0xbbdd, v159
	v_fmamk_f16 v146, v73, 0x3b76, v172
	v_fma_f16 v147, v52, 0xbbdd, -v166
	v_mul_f16_e32 v169, 0xb836, v105
	v_mul_f16_e32 v174, 0x3964, v151
	v_add_f16_sdwa v148, v143, v0 dst_sel:DWORD dst_unused:UNUSED_PAD src0_sel:DWORD src1_sel:WORD_1
	v_fma_f16 v152, v53, 0x3b76, -v168
	v_fmamk_f16 v154, v74, 0xbacd, v173
	v_add_f16_e32 v147, v147, v0
	v_mul_f16_e32 v143, 0x3964, v110
	v_add_f16_e32 v146, v146, v148
	v_mul_f16_e32 v175, 0xba62, v153
	v_fma_f16 v148, v54, 0xbacd, -v169
	v_fmamk_f16 v157, v78, 0x39e9, v174
	v_add_f16_e32 v147, v152, v147
	v_add_f16_e32 v152, v154, v146
	v_fma_f16 v154, v55, 0x39e9, -v143
	v_fmamk_f16 v160, v79, 0xb8d2, v175
	v_mul_f16_e32 v146, 0xba62, v115
	v_add_f16_e32 v161, v148, v147
	v_add_f16_e32 v152, v157, v152
	v_mul_f16_e32 v148, 0x3b29, v155
	v_mul_f16_e32 v147, 0xb836, v142
	;; [unrolled: 1-line block ×3, first 2 shown]
	v_add_f16_e32 v157, v154, v161
	v_add_f16_e32 v152, v160, v152
	v_fmamk_f16 v160, v83, 0x3722, v148
	v_fmamk_f16 v161, v70, 0xbacd, v147
	v_fma_f16 v142, v56, 0xb8d2, -v146
	v_mul_f16_e32 v154, 0x3b29, v126
	v_mul_f16_e32 v150, 0xbbf7, v150
	v_add_f16_e32 v163, v160, v152
	v_add_f16_sdwa v152, v161, v0 dst_sel:DWORD dst_unused:UNUSED_PAD src0_sel:DWORD src1_sel:WORD_1
	v_fmamk_f16 v161, v73, 0x3722, v149
	v_add_f16_e32 v142, v142, v157
	v_fma_f16 v157, v57, 0x3722, -v154
	v_mul_f16_e32 v160, 0xbbb2, v164
	v_fmamk_f16 v167, v74, 0x2de8, v150
	v_add_f16_e32 v161, v161, v152
	v_mul_f16_e32 v152, 0x3a62, v151
	v_add_f16_e32 v142, v157, v142
	v_mul_f16_e32 v157, 0xbbb2, v132
	v_fmamk_f16 v200, v86, 0xb461, v160
	v_mul_f16_e32 v162, 0x3bf7, v199
	v_add_f16_e32 v161, v167, v161
	v_fmamk_f16 v167, v78, 0xb8d2, v152
	v_mul_f16_e32 v151, 0xb5c8, v153
	v_fma_f16 v201, v58, 0xb461, -v157
	v_add_f16_e32 v163, v200, v163
	v_fmamk_f16 v200, v88, 0x2de8, v162
	v_add_f16_e32 v167, v167, v161
	v_fmamk_f16 v202, v79, 0x3b76, v151
	v_mul_f16_e32 v153, 0xb1e1, v155
	v_add_f16_e32 v201, v201, v142
	v_add_f16_e32 v142, v200, v163
	v_mul_f16_e32 v163, 0xb836, v89
	v_add_f16_e32 v89, v202, v167
	v_fmamk_f16 v167, v83, 0xbbdd, v153
	v_mul_f16_e32 v155, 0x3964, v164
	v_mul_f16_e32 v161, 0x3bf7, v139
	;; [unrolled: 1-line block ×3, first 2 shown]
	v_fma_f16 v202, v52, 0xbacd, -v163
	v_add_f16_e32 v95, v167, v89
	v_fmamk_f16 v203, v86, 0x39e9, v155
	v_fma_f16 v200, v60, 0x2de8, -v161
	v_mul_f16_e32 v167, 0xbbf7, v105
	v_mul_f16_e32 v110, 0x3a62, v110
	;; [unrolled: 1-line block ×3, first 2 shown]
	v_add_f16_e32 v105, v203, v95
	v_mul_f16_e32 v95, 0xbbb2, v199
	v_mul_f16_e32 v199, 0xb8d2, v70
	v_add_f16_e32 v89, v200, v201
	v_add_f16_e32 v200, v202, v0
	v_fma_f16 v201, v53, 0x3722, -v164
	v_mul_f16_e32 v202, 0xb461, v73
	v_add_f16_e32 v184, v184, v199
	v_fmamk_f16 v199, v88, 0xb461, v95
	v_mul_f16_e32 v126, 0xb1e1, v126
	v_add_f16_e32 v200, v201, v200
	v_fma_f16 v201, v54, 0x2de8, -v167
	v_add_f16_e32 v185, v185, v202
	v_add_f16_sdwa v184, v184, v0 dst_sel:DWORD dst_unused:UNUSED_PAD src0_sel:DWORD src1_sel:WORD_1
	v_add_f16_e32 v105, v199, v105
	v_mul_f16_e32 v199, 0x3b76, v74
	v_add_f16_e32 v200, v201, v200
	v_fma_f16 v201, v55, 0xb8d2, -v110
	v_add_f16_e32 v184, v185, v184
	v_mul_f16_e32 v185, 0xb8d2, v52
	v_add_f16_e32 v187, v187, v199
	v_mul_f16_e32 v199, 0xb461, v53
	v_add_f16_e32 v200, v201, v200
	v_fma_f16 v201, v56, 0x3b76, -v115
	v_sub_f16_e32 v178, v185, v178
	v_add_f16_e32 v184, v187, v184
	v_sub_f16_e32 v181, v199, v181
	v_mul_f16_e32 v187, 0x3b76, v54
	v_add_f16_e32 v185, v201, v200
	v_mul_f16_e32 v200, 0xbacd, v78
	v_add_f16_e32 v178, v178, v0
	v_fma_f16 v201, v57, 0xbbdd, -v126
	v_mul_f16_e32 v132, 0x3964, v132
	v_mul_f16_e32 v139, 0xbbb2, v139
	v_add_f16_e32 v190, v190, v200
	v_add_f16_e32 v178, v181, v178
	v_sub_f16_e32 v181, v187, v183
	v_mul_f16_e32 v183, 0xbacd, v55
	v_mul_f16_e32 v187, 0x2de8, v79
	v_add_f16_e32 v185, v201, v185
	v_add_f16_e32 v184, v190, v184
	v_fma_f16 v190, v58, 0x39e9, -v132
	v_add_f16_e32 v178, v181, v178
	v_sub_f16_e32 v181, v183, v188
	v_add_f16_e32 v183, v192, v187
	v_mul_f16_e32 v187, 0x2de8, v56
	v_mul_f16_e32 v188, 0x39e9, v83
	v_add_f16_e32 v185, v190, v185
	v_add_f16_e32 v178, v181, v178
	;; [unrolled: 1-line block ×3, first 2 shown]
	v_sub_f16_e32 v181, v187, v191
	v_mul_f16_e32 v184, 0x39e9, v57
	v_add_f16_e32 v187, v194, v188
	v_fma_f16 v188, v60, 0xb461, -v139
	v_mul_f16_e32 v190, 0xbbdd, v86
	v_add_f16_e32 v181, v181, v178
	v_sub_f16_e32 v184, v184, v193
	v_mul_f16_e32 v191, 0xbbdd, v58
	v_add_f16_e32 v178, v188, v185
	v_add_f16_e32 v183, v187, v183
	;; [unrolled: 1-line block ×3, first 2 shown]
	v_mul_f16_e32 v188, 0xb461, v70
	v_add_f16_e32 v181, v184, v181
	v_sub_f16_e32 v184, v191, v195
	v_mul_f16_e32 v187, 0x3722, v88
	v_add_f16_e32 v183, v185, v183
	v_mul_f16_e32 v185, 0x3722, v60
	v_mul_f16_e32 v190, 0xbacd, v73
	v_add_f16_e32 v158, v158, v188
	v_add_f16_e32 v187, v197, v187
	;; [unrolled: 1-line block ×3, first 2 shown]
	v_sub_f16_e32 v184, v185, v198
	v_add_f16_e32 v165, v165, v190
	v_mul_f16_e32 v185, 0xb461, v52
	v_add_f16_sdwa v188, v158, v0 dst_sel:DWORD dst_unused:UNUSED_PAD src0_sel:DWORD src1_sel:WORD_1
	v_mul_f16_e32 v190, 0x39e9, v74
	v_mul_f16_e32 v191, 0xbacd, v53
	v_add_f16_e32 v158, v187, v183
	v_sub_f16_e32 v124, v185, v124
	v_add_f16_e32 v165, v165, v188
	v_add_f16_e32 v171, v171, v190
	v_mul_f16_e32 v183, 0x3722, v78
	v_sub_f16_e32 v125, v191, v125
	v_add_f16_e32 v185, v124, v0
	v_add_f16_e32 v124, v184, v181
	v_mul_f16_e32 v181, 0x39e9, v54
	v_add_f16_e32 v165, v171, v165
	v_add_f16_e32 v171, v177, v183
	v_add_f16_e32 v125, v125, v185
	v_mul_f16_e32 v177, 0xbbdd, v79
	v_sub_f16_e32 v120, v181, v120
	v_mul_f16_e32 v184, 0x3b76, v58
	v_add_f16_e32 v165, v171, v165
	v_mul_f16_e32 v171, 0x3722, v55
	v_add_f16_e32 v177, v180, v177
	v_add_f16_e32 v120, v120, v125
	v_mul_f16_e32 v125, 0x2de8, v83
	v_sub_f16_e32 v117, v184, v117
	v_sub_f16_e32 v121, v171, v121
	v_add_f16_e32 v165, v177, v165
	v_mul_f16_e32 v177, 0xbbdd, v56
	v_add_f16_e32 v125, v182, v125
	v_mul_f16_e32 v184, 0xb8d2, v60
	v_add_f16_e32 v120, v121, v120
	v_mul_f16_e32 v121, 0x3b76, v86
	v_sub_f16_e32 v122, v177, v122
	v_add_f16_e32 v125, v125, v165
	v_mul_f16_e32 v165, 0x2de8, v57
	v_sub_f16_e32 v128, v184, v128
	v_add_f16_e32 v121, v186, v121
	v_add_f16_e32 v120, v122, v120
	v_mul_f16_e32 v122, 0xb8d2, v88
	v_sub_f16_e32 v123, v165, v123
	v_mul_f16_e32 v165, 0x2de8, v52
	v_add_f16_e32 v121, v121, v125
	v_mul_f16_e32 v125, 0x2de8, v70
	v_mul_f16_e32 v177, 0x3722, v52
	v_add_f16_e32 v120, v123, v120
	v_mul_f16_e32 v123, 0xbbdd, v73
	v_sub_f16_e32 v99, v165, v99
	v_add_f16_e32 v125, v136, v125
	v_mul_f16_e32 v183, 0x3722, v70
	v_add_f16_e32 v117, v117, v120
	v_add_f16_e32 v123, v137, v123
	v_mul_f16_e32 v120, 0xb461, v74
	v_add_f16_sdwa v125, v125, v0 dst_sel:DWORD dst_unused:UNUSED_PAD src0_sel:DWORD src1_sel:WORD_1
	v_add_f16_e32 v99, v99, v0
	v_add_f16_e32 v117, v128, v117
	v_mul_f16_e32 v128, 0x3b76, v78
	v_add_f16_e32 v120, v141, v120
	v_add_f16_e32 v123, v123, v125
	;; [unrolled: 1-line block ×3, first 2 shown]
	v_mul_f16_e32 v141, 0xb8d2, v53
	v_add_f16_e32 v128, v144, v128
	v_mul_f16_e32 v144, 0x3722, v79
	v_add_f16_e32 v120, v120, v123
	;; [unrolled: 2-line block ×4, first 2 shown]
	v_add_f16_e32 v120, v128, v120
	v_sub_f16_e32 v103, v123, v103
	v_mul_f16_e32 v128, 0xb461, v54
	v_add_f16_e32 v111, v111, v183
	v_sub_f16_e32 v68, v177, v68
	v_add_f16_e32 v120, v144, v120
	v_add_f16_e32 v99, v103, v99
	v_mul_f16_e32 v103, 0xbacd, v83
	v_sub_f16_e32 v100, v128, v100
	v_mul_f16_e32 v144, 0x3b76, v55
	v_mul_f16_e32 v182, 0x39e9, v70
	v_add_f16_e32 v113, v113, v122
	v_add_f16_e32 v103, v170, v103
	;; [unrolled: 1-line block ×3, first 2 shown]
	v_mul_f16_e32 v100, 0xb8d2, v86
	v_sub_f16_e32 v101, v144, v101
	v_mul_f16_e32 v170, 0xbbdd, v54
	v_mul_f16_e32 v144, 0xbbdd, v74
	v_add_f16_e32 v103, v103, v120
	v_add_f16_e32 v100, v176, v100
	;; [unrolled: 1-line block ×3, first 2 shown]
	v_mul_f16_e32 v101, 0x39e9, v88
	v_add_f16_sdwa v111, v111, v0 dst_sel:DWORD dst_unused:UNUSED_PAD src0_sel:DWORD src1_sel:WORD_1
	v_sub_f16_e32 v67, v141, v67
	v_add_f16_e32 v68, v68, v0
	v_mul_f16_e32 v125, 0x2de8, v73
	v_mul_f16_e32 v120, 0x3722, v56
	v_add_f16_e32 v100, v100, v103
	v_add_f16_e32 v101, v179, v101
	v_mul_f16_e32 v183, 0xb461, v55
	v_mul_f16_e32 v122, 0xb461, v78
	v_add_f16_e32 v111, v113, v111
	v_add_f16_e32 v127, v127, v144
	;; [unrolled: 1-line block ×3, first 2 shown]
	v_sub_f16_e32 v66, v170, v66
	v_add_f16_e32 v92, v92, v182
	v_mul_f16_e32 v128, 0xb8d2, v74
	v_sub_f16_e32 v102, v120, v102
	v_add_f16_e32 v100, v101, v100
	v_mul_f16_e32 v101, 0x39e9, v56
	v_add_f16_e32 v111, v127, v111
	v_add_f16_e32 v122, v131, v122
	;; [unrolled: 1-line block ×3, first 2 shown]
	v_sub_f16_e32 v69, v183, v69
	v_add_f16_e32 v94, v94, v125
	v_add_f16_sdwa v92, v92, v0 dst_sel:DWORD dst_unused:UNUSED_PAD src0_sel:DWORD src1_sel:WORD_1
	v_add_f16_e32 v99, v102, v99
	v_mul_f16_e32 v102, 0xbbdd, v78
	v_add_f16_e32 v111, v122, v111
	v_mul_f16_e32 v122, 0x3b76, v57
	v_add_f16_e32 v66, v69, v66
	v_sub_f16_e32 v71, v101, v71
	v_add_f16_e32 v92, v94, v92
	v_add_f16_e32 v106, v106, v128
	v_mul_f16_e32 v171, 0x39e9, v52
	v_mul_f16_e32 v144, 0xbacd, v79
	;; [unrolled: 1-line block ×4, first 2 shown]
	v_add_f16_e32 v66, v71, v66
	v_sub_f16_e32 v71, v122, v75
	v_add_f16_e32 v75, v106, v92
	v_add_f16_e32 v92, v112, v102
	v_mul_f16_e32 v180, 0x3b76, v70
	v_mul_f16_e32 v184, 0x2de8, v53
	v_sub_f16_e32 v93, v177, v93
	v_mul_f16_e32 v177, 0xb461, v83
	v_mul_f16_e32 v94, 0xbacd, v60
	v_add_f16_e32 v66, v71, v66
	v_sub_f16_e32 v71, v183, v77
	v_add_f16_e32 v75, v92, v75
	v_add_f16_e32 v77, v118, v144
	v_sub_f16_e32 v59, v171, v59
	v_mul_f16_e32 v137, 0x39e9, v73
	v_mul_f16_e32 v156, 0xb8d2, v54
	v_add_f16_e32 v66, v71, v66
	v_add_f16_e32 v71, v77, v75
	;; [unrolled: 1-line block ×4, first 2 shown]
	v_sub_f16_e32 v62, v184, v62
	v_sub_f16_e32 v77, v94, v82
	v_add_f16_e32 v82, v84, v180
	v_mul_f16_e32 v181, 0x3b76, v52
	v_mul_f16_e32 v123, 0x3722, v74
	;; [unrolled: 1-line block ×4, first 2 shown]
	v_add_f16_e32 v71, v75, v71
	v_add_f16_e32 v59, v62, v59
	v_sub_f16_e32 v61, v156, v61
	v_add_f16_sdwa v62, v82, v0 dst_sel:DWORD dst_unused:UNUSED_PAD src0_sel:DWORD src1_sel:WORD_1
	v_add_f16_e32 v75, v85, v137
	v_mul_f16_e32 v136, 0x39e9, v53
	v_mul_f16_e32 v120, 0x2de8, v78
	v_sub_f16_e32 v96, v179, v96
	v_mul_f16_e32 v179, 0xb8d2, v58
	v_mul_f16_e32 v113, 0xbacd, v56
	v_add_f16_e32 v59, v61, v59
	v_sub_f16_e32 v61, v103, v64
	v_add_f16_e32 v62, v75, v62
	v_add_f16_e32 v64, v90, v123
	v_sub_f16_e32 v75, v181, v80
	v_mul_f16_e32 v165, 0x3722, v54
	v_add_f16_e32 v96, v96, v99
	v_sub_f16_e32 v97, v179, v97
	v_mul_f16_e32 v179, 0xb461, v79
	v_mul_f16_e32 v141, 0xb461, v57
	v_add_f16_e32 v59, v61, v59
	v_sub_f16_e32 v61, v113, v63
	v_add_f16_e32 v62, v64, v62
	v_add_f16_e32 v63, v98, v120
	;; [unrolled: 1-line block ×3, first 2 shown]
	v_sub_f16_e32 v75, v136, v81
	v_mul_f16_e32 v176, 0x2de8, v55
	v_add_f16_e32 v96, v97, v96
	v_mul_f16_e32 v97, 0x39e9, v79
	v_mul_f16_e32 v131, 0xb8d2, v83
	;; [unrolled: 1-line block ×3, first 2 shown]
	v_add_f16_e32 v59, v61, v59
	v_sub_f16_e32 v61, v141, v65
	v_add_f16_e32 v62, v63, v62
	v_add_f16_e32 v63, v107, v179
	;; [unrolled: 1-line block ×3, first 2 shown]
	v_sub_f16_e32 v65, v165, v87
	v_mul_f16_e32 v99, 0xb461, v56
	v_add_f16_e32 v97, v134, v97
	v_mul_f16_e32 v134, 0xbacd, v86
	v_mul_f16_e32 v69, 0x3b76, v60
	v_add_f16_e32 v59, v61, v59
	v_sub_f16_e32 v61, v182, v72
	v_add_f16_e32 v62, v63, v62
	v_add_f16_e32 v63, v114, v131
	;; [unrolled: 1-line block ×3, first 2 shown]
	v_sub_f16_e32 v65, v176, v91
	v_mul_f16_e32 v127, 0xb8d2, v57
	v_mul_f16_e32 v67, 0x3722, v86
	v_add_f16_e32 v59, v61, v59
	v_sub_f16_e32 v61, v69, v76
	v_add_f16_e32 v62, v63, v62
	v_add_f16_e32 v63, v119, v134
	;; [unrolled: 1-line block ×3, first 2 shown]
	v_sub_f16_e32 v65, v99, v104
	v_fma_f16 v69, v70, 0xbbdd, -v159
	v_mul_f16_e32 v170, 0xbacd, v58
	v_mul_f16_e32 v101, 0x3b76, v88
	v_add_f16_e32 v67, v133, v67
	v_add_f16_e32 v59, v61, v59
	;; [unrolled: 1-line block ×4, first 2 shown]
	v_sub_f16_e32 v63, v127, v108
	v_add_f16_sdwa v64, v69, v0 dst_sel:DWORD dst_unused:UNUSED_PAD src0_sel:DWORD src1_sel:WORD_1
	v_fma_f16 v65, v73, 0x3b76, -v172
	v_add_f16_e32 v97, v97, v111
	v_mul_f16_e32 v111, 0xbbdd, v60
	v_add_f16_e32 v67, v67, v71
	v_add_f16_e32 v71, v138, v101
	v_fmac_f16_e32 v166, 0xbbdd, v52
	v_add_f16_e32 v62, v63, v62
	v_sub_f16_e32 v63, v170, v109
	v_add_f16_e32 v64, v65, v64
	v_fma_f16 v65, v74, 0xbacd, -v173
	v_add_f16_e32 v67, v71, v67
	v_add_f16_e32 v71, v166, v0
	v_fmac_f16_e32 v168, 0x3b76, v53
	v_add_f16_e32 v62, v63, v62
	v_sub_f16_e32 v63, v111, v116
	v_add_f16_e32 v64, v65, v64
	v_fma_f16 v65, v78, 0x39e9, -v174
	v_add_f16_sdwa v51, v51, v0 dst_sel:DWORD dst_unused:UNUSED_PAD src0_sel:DWORD src1_sel:WORD_1
	v_add_f16_e32 v1, v1, v0
	v_add_f16_e32 v71, v168, v71
	v_fmac_f16_e32 v169, 0xbacd, v54
	v_add_f16_e32 v62, v63, v62
	v_add_f16_e32 v63, v65, v64
	v_fma_f16 v64, v79, 0xb8d2, -v175
	v_add_f16_e32 v50, v50, v51
	v_add_f16_e32 v1, v21, v1
	v_add_f16_e32 v65, v169, v71
	v_fmac_f16_e32 v143, 0x39e9, v55
	v_add_f16_e32 v63, v64, v63
	v_fma_f16 v64, v83, 0x3722, -v148
	v_add_f16_e32 v49, v49, v50
	v_add_f16_e32 v1, v22, v1
	v_add_f16_e32 v21, v143, v65
	v_fmac_f16_e32 v146, 0xb8d2, v56
	;; [unrolled: 6-line block ×4, first 2 shown]
	v_add_f16_e32 v19, v22, v19
	v_add_f16_e32 v22, v46, v47
	;; [unrolled: 1-line block ×3, first 2 shown]
	v_fma_f16 v20, v70, 0xbacd, -v147
	v_add_f16_e32 v17, v157, v21
	v_fmac_f16_e32 v163, 0xbacd, v52
	v_add_f16_e32 v21, v45, v22
	v_add_f16_e32 v1, v18, v1
	v_add_f16_sdwa v20, v20, v0 dst_sel:DWORD dst_unused:UNUSED_PAD src0_sel:DWORD src1_sel:WORD_1
	v_fma_f16 v18, v73, 0x3722, -v149
	v_add_f16_e32 v0, v163, v0
	v_add_f16_e32 v21, v44, v21
	;; [unrolled: 1-line block ×3, first 2 shown]
	v_fmac_f16_e32 v164, 0x3722, v53
	v_add_f16_e32 v4, v18, v20
	v_fma_f16 v18, v74, 0x2de8, -v150
	v_add_f16_e32 v20, v43, v21
	v_add_f16_e32 v1, v5, v1
	v_fma_f16 v5, v78, 0xb8d2, -v152
	v_add_f16_e32 v0, v164, v0
	v_add_f16_e32 v4, v18, v4
	;; [unrolled: 1-line block ×4, first 2 shown]
	v_fmac_f16_e32 v167, 0x2de8, v54
	v_fmac_f16_e32 v110, 0xb8d2, v55
	v_add_f16_e32 v2, v5, v4
	v_add_f16_e32 v4, v41, v18
	;; [unrolled: 1-line block ×3, first 2 shown]
	v_fma_f16 v3, v79, 0x3b76, -v151
	v_add_f16_e32 v0, v167, v0
	v_mul_f16_e32 v68, 0x3b76, v83
	v_add_f16_e32 v4, v40, v4
	v_add_f16_e32 v1, v6, v1
	;; [unrolled: 1-line block ×3, first 2 shown]
	v_fma_f16 v3, v83, 0xbbdd, -v153
	v_add_f16_e32 v0, v110, v0
	v_add_f16_e32 v4, v30, v4
	;; [unrolled: 1-line block ×3, first 2 shown]
	v_fmac_f16_e32 v115, 0x3b76, v56
	v_mul_f16_e32 v125, 0x2de8, v86
	v_add_f16_e32 v68, v135, v68
	v_add_f16_e32 v2, v3, v2
	v_fma_f16 v3, v86, 0x39e9, -v155
	v_add_f16_e32 v4, v26, v4
	v_add_f16_e32 v1, v15, v1
	v_mul_f16_e32 v135, 0xbbdd, v88
	v_add_f16_e32 v0, v115, v0
	v_fmac_f16_e32 v126, 0xbbdd, v57
	v_mul_f16_e32 v128, 0xbacd, v88
	v_add_f16_e32 v68, v68, v97
	v_add_f16_e32 v97, v140, v125
	;; [unrolled: 1-line block ×7, first 2 shown]
	v_fmac_f16_e32 v132, 0x39e9, v58
	v_add_f16_e32 v68, v97, v68
	v_add_f16_e32 v97, v145, v128
	v_add_f16_sdwa v3, v24, v3 dst_sel:WORD_1 dst_unused:UNUSED_PAD src0_sel:DWORD src1_sel:DWORD
	v_add_f16_e32 v1, v23, v1
	v_and_b32_e32 v5, 0xffff, v32
	v_add_f16_e32 v61, v69, v61
	v_fmac_f16_e32 v161, 0x2de8, v60
	v_fma_f16 v4, v88, 0xb461, -v95
	v_add_f16_e32 v0, v132, v0
	v_fmac_f16_e32 v139, 0xb461, v60
	v_add_f16_e32 v92, v93, v96
	v_add_f16_e32 v68, v97, v68
	;; [unrolled: 1-line block ×3, first 2 shown]
	v_or_b32_sdwa v1, v3, v1 dst_sel:DWORD dst_unused:UNUSED_PAD src0_sel:DWORD src1_sel:WORD_0
	v_add_lshl_u32 v3, v13, v5, 2
	v_add_f16_e32 v17, v161, v17
	v_add_f16_e32 v2, v4, v2
	v_pack_b32_f16 v4, v59, v67
	v_pack_b32_f16 v5, v62, v61
	v_add_f16_e32 v0, v139, v0
	v_pack_b32_f16 v6, v92, v100
	v_pack_b32_f16 v7, v66, v68
	;; [unrolled: 1-line block ×4, first 2 shown]
	ds_write_b32 v3, v1
	ds_write2_b32 v3, v5, v4 offset0:1 offset1:2
	ds_write2_b32 v3, v7, v6 offset0:3 offset1:4
	;; [unrolled: 1-line block ×3, first 2 shown]
	v_pack_b32_f16 v1, v89, v142
	v_pack_b32_f16 v4, v178, v105
	;; [unrolled: 1-line block ×4, first 2 shown]
	v_perm_b32 v5, v38, v11, 0x5040100
	v_perm_b32 v6, v39, v14, 0x5040100
	;; [unrolled: 1-line block ×6, first 2 shown]
	ds_write2_b32 v3, v4, v1 offset0:7 offset1:8
	ds_write2_b32 v3, v2, v0 offset0:9 offset1:10
	;; [unrolled: 1-line block ×5, first 2 shown]
.LBB0_7:
	s_or_b32 exec_lo, exec_lo, s4
	v_mul_u32_u24_e32 v0, 10, v29
	s_load_dwordx4 s[4:7], s[2:3], 0x0
	s_waitcnt lgkmcnt(0)
	s_barrier
	buffer_gl0_inv
	v_lshlrev_b32_e32 v15, 2, v0
	v_add_lshl_u32 v40, v13, v29, 2
	v_lshl_add_u32 v30, v29, 2, v31
	s_clause 0x2
	global_load_dwordx4 v[4:7], v15, s[0:1]
	global_load_dwordx4 v[0:3], v15, s[0:1] offset:16
	global_load_dwordx2 v[15:16], v15, s[0:1] offset:32
	ds_read2_b32 v[17:18], v40 offset1:17
	ds_read2_b32 v[19:20], v40 offset0:34 offset1:51
	ds_read2_b32 v[21:22], v40 offset0:68 offset1:85
	;; [unrolled: 1-line block ×4, first 2 shown]
	ds_read_b32 v13, v40 offset:680
	s_waitcnt lgkmcnt(5)
	v_lshrrev_b32_e32 v41, 16, v18
	s_waitcnt lgkmcnt(4)
	v_lshrrev_b32_e32 v42, 16, v19
	v_lshrrev_b32_e32 v43, 16, v20
	s_waitcnt lgkmcnt(3)
	v_lshrrev_b32_e32 v44, 16, v21
	s_waitcnt lgkmcnt(1)
	;; [unrolled: 2-line block ×3, first 2 shown]
	v_lshrrev_b32_e32 v50, 16, v13
	v_lshrrev_b32_e32 v45, 16, v22
	;; [unrolled: 1-line block ×5, first 2 shown]
	s_waitcnt vmcnt(2)
	v_mul_f16_sdwa v51, v41, v4 dst_sel:DWORD dst_unused:UNUSED_PAD src0_sel:DWORD src1_sel:WORD_1
	v_mul_f16_sdwa v52, v18, v4 dst_sel:DWORD dst_unused:UNUSED_PAD src0_sel:DWORD src1_sel:WORD_1
	;; [unrolled: 1-line block ×4, first 2 shown]
	s_waitcnt vmcnt(0)
	v_mul_f16_sdwa v67, v49, v15 dst_sel:DWORD dst_unused:UNUSED_PAD src0_sel:DWORD src1_sel:WORD_1
	v_mul_f16_sdwa v69, v50, v16 dst_sel:DWORD dst_unused:UNUSED_PAD src0_sel:DWORD src1_sel:WORD_1
	v_mul_f16_sdwa v70, v13, v16 dst_sel:DWORD dst_unused:UNUSED_PAD src0_sel:DWORD src1_sel:WORD_1
	v_fma_f16 v18, v18, v4, -v51
	v_fmac_f16_e32 v52, v41, v4
	v_mul_f16_sdwa v55, v43, v6 dst_sel:DWORD dst_unused:UNUSED_PAD src0_sel:DWORD src1_sel:WORD_1
	v_mul_f16_sdwa v56, v20, v6 dst_sel:DWORD dst_unused:UNUSED_PAD src0_sel:DWORD src1_sel:WORD_1
	;; [unrolled: 1-line block ×13, first 2 shown]
	v_fma_f16 v19, v19, v5, -v53
	v_fmac_f16_e32 v54, v42, v5
	v_fma_f16 v51, v26, v15, -v67
	v_fma_f16 v53, v13, v16, -v69
	v_fmac_f16_e32 v70, v50, v16
	v_add_f16_e32 v13, v18, v17
	v_add_f16_sdwa v26, v52, v17 dst_sel:DWORD dst_unused:UNUSED_PAD src0_sel:DWORD src1_sel:WORD_1
	v_fma_f16 v20, v20, v6, -v55
	v_fmac_f16_e32 v56, v43, v6
	v_fma_f16 v21, v21, v7, -v57
	v_fmac_f16_e32 v58, v44, v7
	;; [unrolled: 2-line block ×6, first 2 shown]
	v_fmac_f16_e32 v68, v49, v15
	v_add_f16_e32 v41, v18, v53
	v_sub_f16_e32 v18, v18, v53
	v_sub_f16_e32 v43, v52, v70
	v_add_f16_e32 v44, v19, v51
	v_sub_f16_e32 v46, v19, v51
	v_add_f16_e32 v13, v13, v19
	v_add_f16_e32 v19, v26, v54
	;; [unrolled: 1-line block ×4, first 2 shown]
	v_sub_f16_e32 v47, v54, v68
	v_sub_f16_e32 v50, v20, v25
	;; [unrolled: 1-line block ×7, first 2 shown]
	v_mul_f16_e32 v26, 0xb853, v43
	v_mul_f16_e32 v54, 0xb853, v18
	;; [unrolled: 1-line block ×10, first 2 shown]
	v_add_f16_e32 v13, v13, v20
	v_add_f16_e32 v19, v19, v56
	;; [unrolled: 1-line block ×8, first 2 shown]
	v_mul_f16_e32 v77, 0xbb47, v47
	v_mul_f16_e32 v78, 0xbb47, v46
	;; [unrolled: 1-line block ×40, first 2 shown]
	v_fma_f16 v20, v41, 0x3abb, -v26
	v_fmamk_f16 v56, v42, 0x3abb, v54
	v_fmac_f16_e32 v26, 0x3abb, v41
	v_fma_f16 v54, v42, 0x3abb, -v54
	v_fma_f16 v109, v41, 0x36a6, -v71
	v_fmamk_f16 v110, v42, 0x36a6, v72
	v_fmac_f16_e32 v71, 0x36a6, v41
	v_fma_f16 v72, v42, 0x36a6, -v72
	;; [unrolled: 4-line block ×5, first 2 shown]
	v_add_f16_e32 v13, v13, v21
	v_add_f16_e32 v19, v19, v58
	v_fma_f16 v41, v44, 0x36a6, -v77
	v_fmamk_f16 v42, v45, 0x36a6, v78
	v_fmac_f16_e32 v77, 0x36a6, v44
	v_fma_f16 v78, v45, 0x36a6, -v78
	v_fma_f16 v117, v44, 0xb93d, -v79
	v_fmamk_f16 v118, v45, 0xb93d, v80
	v_fmac_f16_e32 v79, 0xb93d, v44
	v_fma_f16 v80, v45, 0xb93d, -v80
	;; [unrolled: 4-line block ×20, first 2 shown]
	v_add_f16_e32 v20, v20, v17
	v_add_f16_sdwa v21, v56, v17 dst_sel:DWORD dst_unused:UNUSED_PAD src0_sel:DWORD src1_sel:WORD_1
	v_add_f16_e32 v26, v26, v17
	v_add_f16_sdwa v54, v54, v17 dst_sel:DWORD dst_unused:UNUSED_PAD src0_sel:DWORD src1_sel:WORD_1
	;; [unrolled: 2-line block ×10, first 2 shown]
	v_add_f16_e32 v13, v13, v22
	v_add_f16_e32 v18, v19, v60
	;; [unrolled: 1-line block ×87, first 2 shown]
	v_add_f16_sdwa v51, v51, v70 dst_sel:WORD_1 dst_unused:UNUSED_PAD src0_sel:DWORD src1_sel:DWORD
	v_add_f16_e32 v24, v107, v56
	v_add_f16_e32 v44, v108, v58
	;; [unrolled: 1-line block ×4, first 2 shown]
	v_pack_b32_f16 v54, v21, v49
	v_pack_b32_f16 v55, v22, v48
	;; [unrolled: 1-line block ×4, first 2 shown]
	v_or_b32_sdwa v17, v51, v17 dst_sel:DWORD dst_unused:UNUSED_PAD src0_sel:DWORD src1_sel:WORD_0
	v_pack_b32_f16 v58, v23, v45
	v_pack_b32_f16 v59, v24, v44
	;; [unrolled: 1-line block ×6, first 2 shown]
	ds_write2_b32 v30, v54, v55 offset0:34 offset1:51
	ds_write2_b32 v30, v56, v57 offset0:68 offset1:85
	;; [unrolled: 1-line block ×4, first 2 shown]
	ds_write_b32 v30, v61 offset:680
	ds_write2_b32 v30, v17, v52 offset1:17
	s_waitcnt lgkmcnt(0)
	s_barrier
	buffer_gl0_inv
	s_and_saveexec_b32 s2, vcc_lo
	s_cbranch_execz .LBB0_9
; %bb.8:
	s_add_u32 s0, s12, 0x2ec
	s_addc_u32 s1, s13, 0
	s_clause 0x10
	global_load_dword v67, v28, s[12:13] offset:748
	global_load_dword v68, v28, s[0:1] offset:44
	;; [unrolled: 1-line block ×17, first 2 shown]
	ds_read2_b32 v[51:52], v30 offset1:11
	ds_read2_b32 v[53:54], v30 offset0:22 offset1:33
	ds_read2_b32 v[55:56], v30 offset0:44 offset1:55
	;; [unrolled: 1-line block ×7, first 2 shown]
	ds_read_b32 v84, v30 offset:704
	s_waitcnt lgkmcnt(8)
	v_lshrrev_b32_e32 v85, 16, v51
	v_lshrrev_b32_e32 v86, 16, v52
	s_waitcnt lgkmcnt(7)
	v_lshrrev_b32_e32 v87, 16, v53
	v_lshrrev_b32_e32 v88, 16, v54
	;; [unrolled: 3-line block ×8, first 2 shown]
	s_waitcnt lgkmcnt(0)
	v_lshrrev_b32_e32 v101, 16, v84
	s_waitcnt vmcnt(16)
	v_mul_f16_sdwa v102, v85, v67 dst_sel:DWORD dst_unused:UNUSED_PAD src0_sel:DWORD src1_sel:WORD_1
	v_mul_f16_sdwa v103, v51, v67 dst_sel:DWORD dst_unused:UNUSED_PAD src0_sel:DWORD src1_sel:WORD_1
	s_waitcnt vmcnt(15)
	v_mul_f16_sdwa v104, v86, v68 dst_sel:DWORD dst_unused:UNUSED_PAD src0_sel:DWORD src1_sel:WORD_1
	v_mul_f16_sdwa v105, v52, v68 dst_sel:DWORD dst_unused:UNUSED_PAD src0_sel:DWORD src1_sel:WORD_1
	;; [unrolled: 3-line block ×17, first 2 shown]
	v_fma_f16 v51, v51, v67, -v102
	v_fmac_f16_e32 v103, v85, v67
	v_fma_f16 v52, v52, v68, -v104
	v_fmac_f16_e32 v105, v86, v68
	;; [unrolled: 2-line block ×17, first 2 shown]
	v_pack_b32_f16 v51, v51, v103
	v_pack_b32_f16 v52, v52, v105
	;; [unrolled: 1-line block ×17, first 2 shown]
	ds_write2_b32 v30, v51, v52 offset1:11
	ds_write2_b32 v30, v53, v54 offset0:22 offset1:33
	ds_write2_b32 v30, v55, v56 offset0:44 offset1:55
	;; [unrolled: 1-line block ×7, first 2 shown]
	ds_write_b32 v30, v67 offset:704
.LBB0_9:
	s_or_b32 exec_lo, exec_lo, s2
	s_waitcnt lgkmcnt(0)
	s_barrier
	buffer_gl0_inv
	s_and_saveexec_b32 s0, vcc_lo
	s_cbranch_execz .LBB0_11
; %bb.10:
	ds_read2_b32 v[17:18], v30 offset1:11
	ds_read2_b32 v[21:22], v30 offset0:22 offset1:33
	ds_read2_b32 v[25:26], v30 offset0:44 offset1:55
	;; [unrolled: 1-line block ×7, first 2 shown]
	ds_read_b32 v33, v30 offset:704
	s_waitcnt lgkmcnt(8)
	v_lshrrev_b32_e32 v50, 16, v18
	s_waitcnt lgkmcnt(7)
	v_lshrrev_b32_e32 v49, 16, v21
	v_lshrrev_b32_e32 v48, 16, v22
	s_waitcnt lgkmcnt(6)
	v_lshrrev_b32_e32 v47, 16, v25
	;; [unrolled: 3-line block ×8, first 2 shown]
.LBB0_11:
	s_or_b32 exec_lo, exec_lo, s0
	s_barrier
	buffer_gl0_inv
	s_and_saveexec_b32 s0, vcc_lo
	s_cbranch_execz .LBB0_13
; %bb.12:
	v_add_f16_e32 v100, v34, v50
	v_sub_f16_e32 v56, v18, v33
	v_add_f16_e32 v122, v35, v49
	v_sub_f16_e32 v53, v21, v10
	v_add_f16_e32 v121, v36, v48
	v_mul_f16_e32 v86, 0xbbdd, v100
	v_sub_f16_e32 v54, v22, v9
	v_mul_f16_e32 v80, 0x3b76, v122
	v_add_f16_e32 v106, v37, v47
	v_mul_f16_e32 v81, 0xbacd, v121
	v_fmamk_f16 v55, v56, 0x31e1, v86
	v_sub_f16_e32 v52, v25, v12
	v_fmamk_f16 v57, v53, 0xb5c8, v80
	v_add_f16_e32 v107, v38, v46
	v_mul_f16_e32 v78, 0x39e9, v106
	v_add_f16_sdwa v58, v55, v17 dst_sel:DWORD dst_unused:UNUSED_PAD src0_sel:DWORD src1_sel:WORD_1
	v_fmamk_f16 v59, v54, 0x3836, v81
	v_sub_f16_e32 v150, v50, v34
	v_sub_f16_e32 v51, v26, v11
	v_add_f16_e32 v108, v39, v45
	v_add_f16_e32 v57, v57, v58
	v_mul_f16_e32 v82, 0xb8d2, v107
	v_fmamk_f16 v58, v52, 0xb964, v78
	v_mul_f16_e32 v88, 0xb1e1, v150
	v_sub_f16_e32 v156, v49, v35
	v_add_f16_e32 v57, v59, v57
	v_add_f16_e32 v59, v33, v18
	v_sub_f16_e32 v55, v23, v14
	v_add_f16_e32 v109, v41, v44
	v_mul_f16_e32 v79, 0x3722, v108
	v_fmamk_f16 v61, v51, 0x3a62, v82
	v_add_f16_e32 v57, v58, v57
	v_add_f16_e32 v60, v10, v21
	v_fmamk_f16 v62, v59, 0xbbdd, v88
	v_mul_f16_e32 v91, 0x35c8, v156
	v_sub_f16_e32 v160, v48, v36
	v_fmamk_f16 v58, v55, 0xbb29, v79
	v_add_f16_e32 v63, v61, v57
	v_mul_f16_e32 v83, 0xb461, v109
	v_sub_f16_e32 v57, v24, v13
	v_add_f16_e32 v62, v62, v17
	v_fmamk_f16 v64, v60, 0x3b76, v91
	v_add_f16_e32 v61, v9, v22
	v_mul_f16_e32 v95, 0xb836, v160
	v_sub_f16_e32 v165, v47, v37
	v_add_f16_e32 v58, v58, v63
	v_fmamk_f16 v65, v57, 0x3bb2, v83
	v_add_f16_e32 v62, v64, v62
	v_fmamk_f16 v64, v61, 0xbacd, v95
	v_add_f16_e32 v63, v12, v25
	v_mul_f16_e32 v89, 0x3964, v165
	v_sub_f16_e32 v170, v46, v38
	v_add_f16_e32 v58, v65, v58
	v_add_f16_e32 v166, v42, v43
	v_add_f16_e32 v65, v64, v62
	v_fmamk_f16 v66, v63, 0x39e9, v89
	v_add_f16_e32 v64, v11, v26
	v_mul_f16_e32 v90, 0xba62, v170
	v_sub_f16_e32 v176, v45, v39
	v_mul_f16_e32 v85, 0x2de8, v166
	v_sub_f16_e32 v62, v19, v20
	v_add_f16_e32 v66, v66, v65
	v_fmamk_f16 v67, v64, 0xb8d2, v90
	v_add_f16_e32 v65, v14, v23
	v_mul_f16_e32 v93, 0x3b29, v176
	v_sub_f16_e32 v168, v44, v41
	v_fmamk_f16 v68, v62, 0xbbf7, v85
	v_add_f16_e32 v67, v67, v66
	v_mul_f16_e32 v112, 0xbacd, v100
	v_fmamk_f16 v69, v65, 0x3722, v93
	v_add_f16_e32 v66, v13, v24
	v_mul_f16_e32 v99, 0xbbb2, v168
	v_sub_f16_e32 v144, v43, v42
	v_add_f16_e32 v58, v68, v58
	v_add_f16_e32 v68, v69, v67
	v_fmamk_f16 v69, v56, 0x3836, v112
	v_mul_f16_e32 v113, 0x3722, v122
	v_fmamk_f16 v70, v66, 0xb461, v99
	v_add_f16_e32 v67, v20, v19
	v_mul_f16_e32 v92, 0x3bf7, v144
	v_add_f16_sdwa v69, v69, v17 dst_sel:DWORD dst_unused:UNUSED_PAD src0_sel:DWORD src1_sel:WORD_1
	v_fmamk_f16 v71, v53, 0xbb29, v113
	v_mul_f16_e32 v114, 0x2de8, v121
	v_add_f16_e32 v68, v70, v68
	v_fmamk_f16 v70, v67, 0x2de8, v92
	v_mul_f16_e32 v110, 0xb836, v150
	v_add_f16_e32 v69, v71, v69
	v_fmamk_f16 v71, v54, 0x3bf7, v114
	v_mul_f16_e32 v126, 0xb8d2, v106
	v_add_f16_e32 v68, v70, v68
	v_fmamk_f16 v70, v59, 0xbacd, v110
	v_mul_f16_e32 v111, 0x3b29, v156
	v_add_f16_e32 v69, v71, v69
	v_fmamk_f16 v71, v52, 0xba62, v126
	v_mul_f16_e32 v117, 0x3b76, v107
	v_add_f16_e32 v70, v70, v17
	v_fmamk_f16 v72, v60, 0x3722, v111
	v_mul_f16_e32 v101, 0xbbf7, v160
	v_add_f16_e32 v69, v71, v69
	v_fmamk_f16 v71, v51, 0x35c8, v117
	v_mul_f16_e32 v105, 0xbbdd, v108
	v_add_f16_e32 v70, v72, v70
	v_fmamk_f16 v72, v61, 0x2de8, v101
	v_mul_f16_e32 v102, 0x3a62, v165
	v_add_f16_e32 v69, v71, v69
	v_fmamk_f16 v71, v55, 0x31e1, v105
	v_mul_f16_e32 v104, 0x39e9, v109
	v_add_f16_e32 v70, v72, v70
	v_fmamk_f16 v72, v63, 0xb8d2, v102
	v_mul_f16_e32 v94, 0xb5c8, v170
	v_add_f16_e32 v69, v71, v69
	v_fmamk_f16 v71, v57, 0xb964, v104
	v_mul_f16_e32 v87, 0xb461, v166
	v_add_f16_e32 v70, v72, v70
	v_fmamk_f16 v72, v64, 0x3b76, v94
	v_mul_f16_e32 v96, 0xb1e1, v176
	v_add_f16_e32 v69, v71, v69
	v_fmamk_f16 v71, v62, 0x3bb2, v87
	v_mul_f16_e32 v127, 0xb8d2, v100
	v_add_f16_e32 v70, v72, v70
	v_fmamk_f16 v72, v65, 0xbbdd, v96
	v_mul_f16_e32 v97, 0x3964, v168
	v_add_f16_e32 v69, v71, v69
	v_fmamk_f16 v71, v56, 0x3a62, v127
	v_mul_f16_e32 v128, 0xb461, v122
	v_add_f16_e32 v70, v72, v70
	v_fmamk_f16 v72, v66, 0x39e9, v97
	v_mul_f16_e32 v98, 0xbbb2, v144
	v_add_f16_sdwa v71, v71, v17 dst_sel:DWORD dst_unused:UNUSED_PAD src0_sel:DWORD src1_sel:WORD_1
	v_fmamk_f16 v73, v53, 0xbbb2, v128
	v_mul_f16_e32 v115, 0x3b76, v121
	v_add_f16_e32 v70, v72, v70
	v_fmamk_f16 v72, v67, 0xb461, v98
	v_mul_f16_e32 v137, 0xba62, v150
	v_add_f16_e32 v71, v73, v71
	v_fmamk_f16 v73, v54, 0x35c8, v115
	v_mul_f16_e32 v129, 0xbacd, v106
	v_add_f16_e32 v70, v72, v70
	v_fmamk_f16 v72, v59, 0xb8d2, v137
	v_mul_f16_e32 v140, 0x3bb2, v156
	v_add_f16_e32 v71, v73, v71
	v_fmamk_f16 v73, v52, 0x3836, v129
	v_mul_f16_e32 v134, 0x2de8, v107
	v_add_f16_e32 v72, v72, v17
	v_fmamk_f16 v74, v60, 0xb461, v140
	v_mul_f16_e32 v145, 0xb5c8, v160
	v_add_f16_e32 v71, v73, v71
	v_fmamk_f16 v73, v51, 0xbbf7, v134
	v_mul_f16_e32 v135, 0x39e9, v108
	v_add_f16_e32 v72, v74, v72
	v_fmamk_f16 v74, v61, 0x3b76, v145
	v_mul_f16_e32 v146, 0xb836, v165
	v_add_f16_e32 v71, v73, v71
	v_fmamk_f16 v73, v55, 0x3964, v135
	v_mul_f16_e32 v123, 0xbbdd, v109
	v_add_f16_e32 v72, v74, v72
	v_fmamk_f16 v74, v63, 0xbacd, v146
	v_mul_f16_e32 v147, 0x3bf7, v170
	v_add_f16_e32 v71, v73, v71
	v_fmamk_f16 v73, v57, 0x31e1, v123
	v_mul_f16_e32 v103, 0x3722, v166
	v_add_f16_e32 v72, v74, v72
	v_fmamk_f16 v74, v64, 0x2de8, v147
	v_mul_f16_e32 v136, 0xb964, v176
	v_add_f16_e32 v71, v73, v71
	v_fmamk_f16 v73, v62, 0xbb29, v103
	v_mul_f16_e32 v151, 0xb461, v100
	v_add_f16_e32 v72, v74, v72
	v_fmamk_f16 v74, v65, 0x39e9, v136
	v_mul_f16_e32 v120, 0xb1e1, v168
	v_add_f16_e32 v71, v73, v71
	v_fmamk_f16 v73, v56, 0x3bb2, v151
	v_mul_f16_e32 v124, 0xbacd, v122
	v_add_f16_e32 v72, v74, v72
	v_fmamk_f16 v74, v66, 0xbbdd, v120
	;; [unrolled: 48-line block ×6, first 2 shown]
	v_mul_f16_e32 v175, 0x35c8, v144
	v_add_f16_sdwa v188, v188, v17 dst_sel:DWORD dst_unused:UNUSED_PAD src0_sel:DWORD src1_sel:WORD_1
	v_fmamk_f16 v211, v53, 0x3964, v122
	v_mul_f16_e32 v121, 0x3722, v121
	v_add_f16_e32 v212, v186, v179
	v_mul_f16_e32 v186, 0xb5c8, v150
	v_fmamk_f16 v213, v67, 0x3b76, v175
	v_add_f16_e32 v150, v211, v188
	v_fmamk_f16 v188, v54, 0x3b29, v121
	v_mul_f16_e32 v179, 0x2de8, v106
	v_fmamk_f16 v211, v59, 0x3b76, v186
	v_mul_f16_e32 v156, 0xb964, v156
	v_add_f16_e32 v106, v213, v212
	v_add_f16_e32 v188, v188, v150
	v_fmamk_f16 v212, v52, 0x3bf7, v179
	v_mul_f16_e32 v150, 0xb461, v107
	v_add_f16_e32 v107, v211, v17
	v_fmamk_f16 v211, v60, 0x39e9, v156
	v_mul_f16_e32 v160, 0xbb29, v160
	;; [unrolled: 3-line block ×8, first 2 shown]
	v_fmac_f16_e32 v86, 0xb1e1, v56
	v_add_f16_e32 v170, v212, v170
	v_fmamk_f16 v176, v62, 0x31e1, v107
	v_add_f16_e32 v211, v213, v211
	v_fmamk_f16 v212, v65, 0xb8d2, v166
	v_add_f16_sdwa v213, v86, v17 dst_sel:DWORD dst_unused:UNUSED_PAD src0_sel:DWORD src1_sel:WORD_1
	v_fmac_f16_e32 v80, 0x35c8, v53
	v_fma_f16 v88, v59, 0xbbdd, -v88
	v_add_f16_e32 v86, v176, v170
	v_add_f16_e32 v170, v212, v211
	v_fmac_f16_e32 v81, 0xb836, v54
	v_add_f16_e32 v211, v80, v213
	v_add_f16_e32 v88, v88, v17
	v_fma_f16 v91, v60, 0x3b76, -v91
	v_fmac_f16_e32 v78, 0x3964, v52
	v_fmac_f16_e32 v112, 0xb836, v56
	v_add_f16_e32 v81, v81, v211
	v_fmac_f16_e32 v82, 0xba62, v51
	v_add_f16_e32 v88, v91, v88
	v_fma_f16 v91, v61, 0xbacd, -v95
	v_fmac_f16_e32 v113, 0x3b29, v53
	v_add_f16_e32 v78, v78, v81
	v_fmac_f16_e32 v79, 0x3b29, v55
	v_fmac_f16_e32 v114, 0xbbf7, v54
	v_add_f16_e32 v81, v91, v88
	v_fma_f16 v88, v63, 0x39e9, -v89
	v_add_f16_sdwa v89, v112, v17 dst_sel:DWORD dst_unused:UNUSED_PAD src0_sel:DWORD src1_sel:WORD_1
	v_add_f16_e32 v78, v82, v78
	v_fma_f16 v82, v64, 0xb8d2, -v90
	v_fmac_f16_e32 v83, 0xbbb2, v57
	v_add_f16_e32 v81, v88, v81
	v_add_f16_e32 v88, v113, v89
	;; [unrolled: 1-line block ×3, first 2 shown]
	v_fmac_f16_e32 v126, 0x3a62, v52
	v_fmac_f16_e32 v85, 0x3bf7, v62
	v_add_f16_e32 v79, v82, v81
	v_fma_f16 v81, v65, 0x3722, -v93
	v_add_f16_e32 v82, v114, v88
	v_add_f16_e32 v78, v83, v78
	v_fmac_f16_e32 v117, 0xb5c8, v51
	v_fma_f16 v88, v59, 0xbacd, -v110
	v_add_f16_e32 v79, v81, v79
	v_fma_f16 v81, v66, 0xb461, -v99
	v_add_f16_e32 v82, v126, v82
	v_add_f16_e32 v78, v85, v78
	v_fma_f16 v85, v60, 0x3722, -v111
	v_fmac_f16_e32 v127, 0xba62, v56
	v_add_f16_e32 v79, v81, v79
	v_add_f16_e32 v81, v117, v82
	;; [unrolled: 1-line block ×3, first 2 shown]
	v_fma_f16 v88, v67, 0x2de8, -v92
	v_add_f16_sdwa v89, v127, v17 dst_sel:DWORD dst_unused:UNUSED_PAD src0_sel:DWORD src1_sel:WORD_1
	v_fmac_f16_e32 v128, 0x3bb2, v53
	v_fmac_f16_e32 v115, 0xb5c8, v54
	v_add_f16_e32 v82, v85, v82
	v_fma_f16 v85, v61, 0x2de8, -v101
	v_add_f16_e32 v79, v88, v79
	v_add_f16_e32 v88, v128, v89
	v_fma_f16 v89, v59, 0xb8d2, -v137
	v_fmac_f16_e32 v129, 0xb836, v52
	v_add_f16_e32 v82, v85, v82
	v_fma_f16 v85, v63, 0xb8d2, -v102
	v_add_f16_e32 v88, v115, v88
	v_add_f16_e32 v89, v89, v17
	v_fma_f16 v90, v60, 0xb461, -v140
	v_fmac_f16_e32 v105, 0xb1e1, v55
	v_add_f16_e32 v82, v85, v82
	v_fma_f16 v85, v64, 0x3b76, -v94
	v_add_f16_e32 v88, v129, v88
	v_fmac_f16_e32 v134, 0x3bf7, v51
	v_add_f16_e32 v89, v90, v89
	v_fma_f16 v90, v61, 0x3b76, -v145
	v_add_f16_e32 v82, v85, v82
	v_fma_f16 v85, v65, 0xbbdd, -v96
	v_add_f16_e32 v81, v105, v81
	v_fmac_f16_e32 v104, 0x3964, v57
	v_add_f16_e32 v88, v134, v88
	v_fmac_f16_e32 v135, 0xb964, v55
	v_add_f16_e32 v82, v85, v82
	v_fma_f16 v85, v66, 0x39e9, -v97
	v_add_f16_e32 v89, v90, v89
	v_fma_f16 v90, v63, 0xbacd, -v146
	v_add_f16_e32 v81, v104, v81
	v_fmac_f16_e32 v87, 0xbbb2, v62
	v_add_f16_e32 v82, v85, v82
	v_fma_f16 v85, v67, 0xb461, -v98
	v_add_f16_e32 v88, v135, v88
	v_fmac_f16_e32 v123, 0xb1e1, v57
	v_add_f16_e32 v89, v90, v89
	v_fma_f16 v90, v64, 0x2de8, -v147
	v_fmac_f16_e32 v151, 0xbbb2, v56
	v_add_f16_e32 v81, v87, v81
	v_add_f16_e32 v82, v85, v82
	;; [unrolled: 1-line block ×4, first 2 shown]
	v_fma_f16 v88, v65, 0x39e9, -v136
	v_add_f16_sdwa v89, v151, v17 dst_sel:DWORD dst_unused:UNUSED_PAD src0_sel:DWORD src1_sel:WORD_1
	v_fmac_f16_e32 v124, 0x3836, v53
	v_fma_f16 v90, v59, 0xb461, -v167
	v_fmac_f16_e32 v125, 0x3964, v54
	v_add_f16_e32 v87, v88, v87
	v_fma_f16 v88, v66, 0xbbdd, -v120
	v_add_f16_e32 v89, v124, v89
	v_add_f16_e32 v90, v90, v17
	v_fma_f16 v91, v60, 0xbacd, -v169
	v_fmac_f16_e32 v182, 0xbbf7, v56
	v_add_f16_e32 v87, v88, v87
	v_add_f16_e32 v88, v125, v89
	v_fmac_f16_e32 v183, 0xb1e1, v53
	v_add_f16_e32 v89, v91, v90
	v_fma_f16 v90, v61, 0x39e9, -v171
	v_add_f16_sdwa v92, v182, v17 dst_sel:DWORD dst_unused:UNUSED_PAD src0_sel:DWORD src1_sel:WORD_1
	v_fmac_f16_e32 v184, 0x3bb2, v54
	v_fma_f16 v91, v67, 0x3722, -v116
	v_fmac_f16_e32 v194, 0x35c8, v52
	v_add_f16_e32 v89, v90, v89
	v_fma_f16 v90, v63, 0x3722, -v152
	v_add_f16_e32 v92, v183, v92
	v_fmac_f16_e32 v187, 0xbb29, v51
	v_add_f16_e32 v87, v91, v87
	v_fma_f16 v91, v59, 0x2de8, -v180
	v_add_f16_e32 v89, v90, v89
	v_fma_f16 v90, v64, 0xbbdd, -v153
	v_add_f16_e32 v92, v184, v92
	v_mul_f16_e32 v168, 0xb836, v168
	v_add_f16_e32 v91, v91, v17
	v_fmac_f16_e32 v195, 0xbb29, v56
	v_add_f16_e32 v89, v90, v89
	v_fma_f16 v90, v65, 0x2de8, -v154
	v_add_f16_e32 v92, v194, v92
	v_fmamk_f16 v176, v66, 0xbacd, v168
	v_mul_f16_e32 v80, 0xb1e1, v144
	v_fma_f16 v93, v67, 0xb8d2, -v141
	v_add_f16_e32 v89, v90, v89
	v_fma_f16 v90, v66, 0x3b76, -v164
	v_add_f16_sdwa v94, v195, v17 dst_sel:DWORD dst_unused:UNUSED_PAD src0_sel:DWORD src1_sel:WORD_1
	v_fmac_f16_e32 v196, 0xba62, v53
	v_add_f16_e32 v170, v176, v170
	v_fmamk_f16 v95, v67, 0xbbdd, v80
	v_add_f16_e32 v89, v90, v89
	v_add_f16_e32 v90, v187, v92
	v_fma_f16 v92, v60, 0xbbdd, -v181
	v_fmac_f16_e32 v185, 0x31e1, v54
	v_add_f16_e32 v83, v95, v170
	v_add_f16_e32 v89, v93, v89
	;; [unrolled: 1-line block ×4, first 2 shown]
	v_fma_f16 v92, v61, 0xb461, -v172
	v_fma_f16 v94, v59, 0x3722, -v201
	v_fmac_f16_e32 v197, 0x3bb2, v52
	v_add_f16_e32 v93, v185, v93
	v_fma_f16 v95, v60, 0xb8d2, -v202
	v_add_f16_e32 v91, v92, v91
	v_fma_f16 v92, v63, 0x3b76, -v173
	v_add_f16_e32 v94, v94, v17
	v_add_f16_e32 v93, v197, v93
	v_fmac_f16_e32 v198, 0x3964, v51
	v_fmac_f16_e32 v199, 0xb5c8, v55
	v_add_f16_e32 v91, v92, v91
	v_fma_f16 v92, v64, 0x3722, -v148
	v_add_f16_e32 v94, v95, v94
	v_fma_f16 v95, v61, 0xbbdd, -v203
	v_add_f16_e32 v93, v198, v93
	v_fmac_f16_e32 v191, 0xbbf7, v57
	v_add_f16_e32 v91, v92, v91
	v_fma_f16 v92, v65, 0xbacd, -v149
	v_add_f16_e32 v94, v95, v94
	v_fma_f16 v95, v63, 0xb461, -v204
	v_add_f16_e32 v93, v199, v93
	v_fmac_f16_e32 v207, 0xb964, v56
	v_add_f16_e32 v91, v92, v91
	v_fma_f16 v92, v66, 0xb8d2, -v158
	v_add_f16_e32 v94, v95, v94
	v_fma_f16 v95, v64, 0x39e9, -v205
	v_fmac_f16_e32 v192, 0xbbf7, v53
	v_fma_f16 v96, v59, 0x39e9, -v208
	v_add_f16_e32 v91, v92, v91
	v_fma_f16 v92, v67, 0x39e9, -v161
	v_fmac_f16_e32 v193, 0xba62, v54
	v_fma_f16 v97, v60, 0x2de8, -v209
	v_add_f16_e32 v96, v96, v17
	v_fmac_f16_e32 v206, 0xb1e1, v52
	v_add_f16_e32 v91, v92, v91
	v_add_f16_e32 v92, v191, v93
	v_add_f16_e32 v93, v95, v94
	v_fma_f16 v94, v65, 0x3b76, -v200
	v_add_f16_sdwa v95, v207, v17 dst_sel:DWORD dst_unused:UNUSED_PAD src0_sel:DWORD src1_sel:WORD_1
	v_add_f16_e32 v96, v97, v96
	v_fma_f16 v97, v61, 0xb8d2, -v210
	v_add_f16_sdwa v50, v50, v17 dst_sel:DWORD dst_unused:UNUSED_PAD src0_sel:DWORD src1_sel:WORD_1
	v_add_f16_e32 v93, v94, v93
	v_fma_f16 v94, v66, 0x2de8, -v189
	v_add_f16_e32 v95, v192, v95
	v_add_f16_e32 v18, v18, v17
	;; [unrolled: 1-line block ×3, first 2 shown]
	v_fma_f16 v50, v64, 0xbacd, -v159
	v_add_f16_e32 v93, v94, v93
	v_fma_f16 v94, v67, 0xbacd, -v190
	v_add_f16_e32 v95, v193, v95
	v_add_f16_e32 v18, v21, v18
	;; [unrolled: 1-line block ×3, first 2 shown]
	v_fmac_f16_e32 v155, 0xb5c8, v56
	v_add_f16_e32 v93, v94, v93
	v_add_f16_e32 v94, v206, v95
	;; [unrolled: 1-line block ×3, first 2 shown]
	v_fma_f16 v96, v63, 0xbbdd, -v157
	v_add_f16_e32 v18, v22, v18
	v_fma_f16 v22, v65, 0xb461, -v162
	v_add_f16_e32 v47, v47, v48
	v_fmac_f16_e32 v122, 0xb964, v53
	v_add_f16_e32 v21, v96, v95
	v_add_f16_e32 v18, v25, v18
	v_fmac_f16_e32 v121, 0xbb29, v54
	v_fmac_f16_e32 v130, 0xbb29, v52
	;; [unrolled: 1-line block ×3, first 2 shown]
	v_add_f16_e32 v21, v50, v21
	v_add_f16_e32 v18, v26, v18
	v_fma_f16 v26, v66, 0x3722, -v174
	v_add_f16_e32 v88, v130, v88
	v_fmac_f16_e32 v131, 0xb1e1, v51
	v_add_f16_e32 v21, v22, v21
	v_add_f16_e32 v22, v46, v47
	;; [unrolled: 1-line block ×3, first 2 shown]
	v_fma_f16 v23, v67, 0x3b76, -v175
	v_fmac_f16_e32 v138, 0x3836, v51
	v_add_f16_e32 v21, v26, v21
	v_add_f16_e32 v22, v45, v22
	;; [unrolled: 1-line block ×3, first 2 shown]
	v_add_f16_sdwa v26, v155, v17 dst_sel:DWORD dst_unused:UNUSED_PAD src0_sel:DWORD src1_sel:WORD_1
	v_fmac_f16_e32 v150, 0xbbb2, v51
	v_add_f16_e32 v21, v23, v21
	v_add_f16_e32 v22, v44, v22
	v_add_f16_e32 v18, v19, v18
	v_fma_f16 v23, v59, 0x3b76, -v186
	v_add_f16_e32 v19, v122, v26
	v_add_f16_e32 v88, v131, v88
	;; [unrolled: 1-line block ×5, first 2 shown]
	v_fma_f16 v20, v60, 0x39e9, -v156
	v_add_f16_e32 v19, v121, v19
	v_add_f16_e32 v22, v42, v22
	;; [unrolled: 1-line block ×3, first 2 shown]
	v_fma_f16 v18, v61, 0x3722, -v160
	v_add_f16_e32 v17, v20, v17
	v_add_f16_e32 v19, v179, v19
	;; [unrolled: 1-line block ×4, first 2 shown]
	v_fmac_f16_e32 v132, 0x3bf7, v55
	v_add_f16_e32 v14, v18, v17
	v_fma_f16 v17, v63, 0x2de8, -v188
	v_add_f16_e32 v20, v39, v22
	v_add_f16_e32 v11, v11, v13
	v_fmac_f16_e32 v178, 0xb836, v55
	v_add_f16_e32 v94, v138, v94
	v_add_f16_e32 v14, v17, v14
	;; [unrolled: 1-line block ×4, first 2 shown]
	v_fma_f16 v12, v64, 0xb461, -v165
	v_fmac_f16_e32 v142, 0x3bb2, v55
	v_add_f16_e32 v13, v150, v19
	v_add_f16_e32 v17, v37, v18
	;; [unrolled: 1-line block ×3, first 2 shown]
	v_fmac_f16_e32 v108, 0xba62, v55
	v_add_f16_e32 v11, v12, v14
	v_fma_f16 v12, v65, 0xb8d2, -v166
	v_add_f16_e32 v17, v36, v17
	v_add_f16_e32 v9, v10, v9
	;; [unrolled: 1-line block ×3, first 2 shown]
	v_fmac_f16_e32 v133, 0xb5c8, v57
	v_add_f16_e32 v90, v178, v90
	v_add_f16_e32 v14, v35, v17
	v_fmac_f16_e32 v177, 0x3a62, v57
	v_add_f16_e32 v94, v142, v94
	v_fmac_f16_e32 v139, 0x3b29, v57
	;; [unrolled: 2-line block ×3, first 2 shown]
	v_add_f16_e32 v10, v12, v11
	v_fma_f16 v11, v66, 0xbacd, -v168
	v_add_f16_sdwa v12, v34, v14 dst_sel:WORD_1 dst_unused:UNUSED_PAD src0_sel:DWORD src1_sel:DWORD
	v_add_f16_e32 v9, v33, v9
	v_and_b32_e32 v14, 0xffff, v32
	v_fmac_f16_e32 v103, 0x3b29, v62
	v_add_f16_e32 v88, v133, v88
	v_fmac_f16_e32 v118, 0xba62, v62
	v_add_f16_e32 v90, v177, v90
	v_fmac_f16_e32 v119, 0x3964, v62
	v_fmac_f16_e32 v163, 0xb836, v62
	v_add_f16_e32 v25, v139, v94
	v_fmac_f16_e32 v143, 0x35c8, v62
	v_add_f16_e32 v13, v109, v13
	v_fmac_f16_e32 v107, 0xb1e1, v62
	v_add_f16_e32 v10, v11, v10
	v_fma_f16 v11, v67, 0xbbdd, -v80
	v_or_b32_sdwa v9, v12, v9 dst_sel:DWORD dst_unused:UNUSED_PAD src0_sel:DWORD src1_sel:WORD_0
	v_lshl_add_u32 v12, v14, 2, v31
	v_pack_b32_f16 v14, v106, v100
	v_pack_b32_f16 v17, v83, v86
	v_add_f16_e32 v85, v103, v85
	v_add_f16_e32 v88, v118, v88
	v_pack_b32_f16 v18, v76, v75
	v_pack_b32_f16 v19, v84, v77
	v_add_f16_e32 v90, v119, v90
	v_add_f16_e32 v92, v163, v92
	;; [unrolled: 4-line block ×3, first 2 shown]
	v_add_f16_e32 v10, v11, v10
	ds_write_b32 v12, v9
	ds_write2_b32 v12, v17, v14 offset0:1 offset1:2
	ds_write2_b32 v12, v19, v18 offset0:3 offset1:4
	;; [unrolled: 1-line block ×3, first 2 shown]
	v_pack_b32_f16 v9, v68, v58
	v_pack_b32_f16 v11, v70, v69
	;; [unrolled: 1-line block ×10, first 2 shown]
	ds_write2_b32 v12, v11, v9 offset0:7 offset1:8
	ds_write2_b32 v12, v17, v14 offset0:9 offset1:10
	;; [unrolled: 1-line block ×5, first 2 shown]
.LBB0_13:
	s_or_b32 exec_lo, exec_lo, s0
	s_waitcnt lgkmcnt(0)
	s_barrier
	buffer_gl0_inv
	ds_read2_b32 v[9:10], v40 offset1:17
	ds_read2_b32 v[11:12], v40 offset0:34 offset1:51
	ds_read2_b32 v[13:14], v40 offset0:68 offset1:85
	;; [unrolled: 1-line block ×4, first 2 shown]
	ds_read_b32 v21, v40 offset:680
	s_waitcnt lgkmcnt(5)
	v_lshrrev_b32_e32 v22, 16, v10
	s_waitcnt lgkmcnt(4)
	v_lshrrev_b32_e32 v23, 16, v11
	v_lshrrev_b32_e32 v24, 16, v12
	s_waitcnt lgkmcnt(3)
	v_lshrrev_b32_e32 v25, 16, v13
	v_mul_f16_sdwa v36, v4, v10 dst_sel:DWORD dst_unused:UNUSED_PAD src0_sel:WORD_1 src1_sel:DWORD
	v_mul_f16_sdwa v37, v5, v11 dst_sel:DWORD dst_unused:UNUSED_PAD src0_sel:WORD_1 src1_sel:DWORD
	;; [unrolled: 1-line block ×3, first 2 shown]
	v_lshrrev_b32_e32 v26, 16, v14
	v_mul_f16_sdwa v38, v6, v12 dst_sel:DWORD dst_unused:UNUSED_PAD src0_sel:WORD_1 src1_sel:DWORD
	v_mul_f16_sdwa v39, v7, v13 dst_sel:DWORD dst_unused:UNUSED_PAD src0_sel:WORD_1 src1_sel:DWORD
	v_fma_f16 v22, v4, v22, -v36
	v_mul_f16_sdwa v36, v5, v23 dst_sel:DWORD dst_unused:UNUSED_PAD src0_sel:WORD_1 src1_sel:DWORD
	v_mul_f16_sdwa v41, v6, v24 dst_sel:DWORD dst_unused:UNUSED_PAD src0_sel:WORD_1 src1_sel:DWORD
	v_fma_f16 v23, v5, v23, -v37
	v_mul_f16_sdwa v37, v7, v25 dst_sel:DWORD dst_unused:UNUSED_PAD src0_sel:WORD_1 src1_sel:DWORD
	v_fmac_f16_e32 v40, v4, v10
	v_fmac_f16_e32 v36, v5, v11
	;; [unrolled: 1-line block ×3, first 2 shown]
	v_fma_f16 v4, v6, v24, -v38
	v_fmac_f16_e32 v37, v7, v13
	v_mul_f16_sdwa v5, v0, v26 dst_sel:DWORD dst_unused:UNUSED_PAD src0_sel:WORD_1 src1_sel:DWORD
	v_fma_f16 v6, v7, v25, -v39
	v_add_f16_e32 v7, v40, v9
	v_mul_f16_sdwa v10, v0, v14 dst_sel:DWORD dst_unused:UNUSED_PAD src0_sel:WORD_1 src1_sel:DWORD
	v_add_f16_sdwa v11, v22, v9 dst_sel:DWORD dst_unused:UNUSED_PAD src0_sel:DWORD src1_sel:WORD_1
	s_waitcnt lgkmcnt(2)
	v_lshrrev_b32_e32 v31, 16, v17
	v_fmac_f16_e32 v5, v0, v14
	v_add_f16_e32 v7, v7, v36
	v_fma_f16 v0, v0, v26, -v10
	v_add_f16_e32 v10, v11, v23
	v_lshrrev_b32_e32 v32, 16, v18
	v_mul_f16_sdwa v12, v1, v31 dst_sel:DWORD dst_unused:UNUSED_PAD src0_sel:WORD_1 src1_sel:DWORD
	v_mul_f16_sdwa v11, v1, v17 dst_sel:DWORD dst_unused:UNUSED_PAD src0_sel:WORD_1 src1_sel:DWORD
	v_add_f16_e32 v7, v7, v41
	v_add_f16_e32 v10, v10, v4
	s_waitcnt lgkmcnt(1)
	v_lshrrev_b32_e32 v33, 16, v19
	v_fmac_f16_e32 v12, v1, v17
	v_mul_f16_sdwa v13, v2, v32 dst_sel:DWORD dst_unused:UNUSED_PAD src0_sel:WORD_1 src1_sel:DWORD
	v_fma_f16 v1, v1, v31, -v11
	v_mul_f16_sdwa v11, v2, v18 dst_sel:DWORD dst_unused:UNUSED_PAD src0_sel:WORD_1 src1_sel:DWORD
	v_add_f16_e32 v7, v7, v37
	v_add_f16_e32 v10, v10, v6
	v_lshrrev_b32_e32 v34, 16, v20
	v_fmac_f16_e32 v13, v2, v18
	v_mul_f16_sdwa v14, v3, v33 dst_sel:DWORD dst_unused:UNUSED_PAD src0_sel:WORD_1 src1_sel:DWORD
	v_fma_f16 v2, v2, v32, -v11
	v_add_f16_e32 v7, v7, v5
	v_mul_f16_sdwa v11, v3, v19 dst_sel:DWORD dst_unused:UNUSED_PAD src0_sel:WORD_1 src1_sel:DWORD
	v_add_f16_e32 v10, v10, v0
	s_waitcnt lgkmcnt(0)
	v_lshrrev_b32_e32 v35, 16, v21
	v_fmac_f16_e32 v14, v3, v19
	v_mul_f16_sdwa v17, v15, v34 dst_sel:DWORD dst_unused:UNUSED_PAD src0_sel:WORD_1 src1_sel:DWORD
	v_add_f16_e32 v7, v7, v12
	v_fma_f16 v3, v3, v33, -v11
	v_add_f16_e32 v10, v10, v1
	v_mul_f16_sdwa v11, v15, v20 dst_sel:DWORD dst_unused:UNUSED_PAD src0_sel:WORD_1 src1_sel:DWORD
	v_mul_f16_sdwa v18, v16, v21 dst_sel:DWORD dst_unused:UNUSED_PAD src0_sel:WORD_1 src1_sel:DWORD
	v_fmac_f16_e32 v17, v15, v20
	v_add_f16_e32 v7, v7, v13
	v_add_f16_e32 v10, v10, v2
	v_fma_f16 v11, v15, v34, -v11
	v_mul_f16_sdwa v15, v16, v35 dst_sel:DWORD dst_unused:UNUSED_PAD src0_sel:WORD_1 src1_sel:DWORD
	v_fma_f16 v18, v16, v35, -v18
	v_add_f16_e32 v7, v7, v14
	v_add_f16_e32 v10, v10, v3
	v_sub_f16_e32 v44, v23, v11
	v_fmac_f16_e32 v15, v16, v21
	v_sub_f16_e32 v16, v22, v18
	v_add_f16_e32 v7, v7, v17
	v_add_f16_e32 v10, v10, v11
	;; [unrolled: 1-line block ×4, first 2 shown]
	v_mul_f16_e32 v21, 0xb853, v16
	v_add_f16_e32 v7, v7, v15
	v_add_f16_sdwa v10, v10, v18 dst_sel:WORD_1 dst_unused:UNUSED_PAD src0_sel:DWORD src1_sel:DWORD
	v_sub_f16_e32 v15, v40, v15
	v_mul_f16_e32 v18, 0x3abb, v19
	v_fmamk_f16 v22, v20, 0x3abb, v21
	v_mul_f16_e32 v24, 0xbb47, v16
	v_mul_f16_e32 v26, 0x36a6, v19
	;; [unrolled: 1-line block ×8, first 2 shown]
	v_add_f16_e32 v46, v36, v17
	v_mul_f16_e32 v47, 0xbb47, v44
	v_add_f16_e32 v11, v23, v11
	v_or_b32_sdwa v7, v10, v7 dst_sel:DWORD dst_unused:UNUSED_PAD src0_sel:DWORD src1_sel:WORD_0
	v_fmamk_f16 v10, v15, 0x3853, v18
	v_add_f16_e32 v22, v22, v9
	v_fma_f16 v21, v20, 0x3abb, -v21
	v_fmac_f16_e32 v18, 0xb853, v15
	v_fmamk_f16 v25, v20, 0x36a6, v24
	v_fmamk_f16 v32, v15, 0x3b47, v26
	v_fma_f16 v24, v20, 0x36a6, -v24
	v_fmac_f16_e32 v26, 0xbb47, v15
	v_fmamk_f16 v33, v20, 0xb08e, v31
	v_fmamk_f16 v35, v15, 0x3beb, v34
	;; [unrolled: 4-line block ×4, first 2 shown]
	v_fma_f16 v16, v20, 0xbbad, -v16
	v_fmac_f16_e32 v19, 0xb482, v15
	v_sub_f16_e32 v15, v36, v17
	v_fmamk_f16 v17, v46, 0x36a6, v47
	v_mul_f16_e32 v20, 0x36a6, v11
	v_add_f16_sdwa v10, v10, v9 dst_sel:DWORD dst_unused:UNUSED_PAD src0_sel:DWORD src1_sel:WORD_1
	v_add_f16_e32 v21, v21, v9
	v_add_f16_sdwa v18, v18, v9 dst_sel:DWORD dst_unused:UNUSED_PAD src0_sel:DWORD src1_sel:WORD_1
	v_add_f16_e32 v25, v25, v9
	;; [unrolled: 2-line block ×10, first 2 shown]
	v_fmamk_f16 v19, v15, 0x3b47, v20
	v_mul_f16_e32 v22, 0xba0c, v44
	v_fma_f16 v36, v46, 0x36a6, -v47
	v_fmac_f16_e32 v20, 0xbb47, v15
	v_mul_f16_e32 v45, 0xb93d, v11
	v_add_f16_e32 v10, v19, v10
	v_fmamk_f16 v19, v46, 0xb93d, v22
	v_add_f16_e32 v21, v36, v21
	v_add_f16_e32 v18, v20, v18
	v_fmamk_f16 v20, v15, 0x3a0c, v45
	v_mul_f16_e32 v36, 0x3482, v44
	v_add_f16_e32 v19, v19, v25
	v_fma_f16 v22, v46, 0xb93d, -v22
	v_fmac_f16_e32 v45, 0xba0c, v15
	v_add_f16_e32 v20, v20, v32
	v_fmamk_f16 v25, v46, 0xbbad, v36
	v_mul_f16_e32 v32, 0xbbad, v11
	v_add_f16_e32 v22, v22, v24
	v_add_f16_e32 v24, v45, v26
	v_mul_f16_e32 v26, 0x3beb, v44
	v_add_f16_e32 v25, v25, v33
	v_fmamk_f16 v33, v15, 0xb482, v32
	v_mul_f16_e32 v47, 0xb08e, v11
	v_mul_f16_e32 v11, 0x3abb, v11
	v_fmamk_f16 v45, v46, 0xb08e, v26
	v_fma_f16 v26, v46, 0xb08e, -v26
	v_add_f16_e32 v33, v33, v35
	v_fmamk_f16 v35, v15, 0xbbeb, v47
	v_fmac_f16_e32 v47, 0x3beb, v15
	v_fma_f16 v36, v46, 0xbbad, -v36
	v_add_f16_e32 v26, v26, v38
	v_fmac_f16_e32 v32, 0x3482, v15
	v_add_f16_e32 v35, v35, v42
	v_fmamk_f16 v42, v15, 0xb853, v11
	v_add_f16_e32 v38, v47, v39
	v_sub_f16_e32 v39, v4, v3
	v_add_f16_e32 v31, v36, v31
	v_mul_f16_e32 v36, 0x3853, v44
	v_add_f16_e32 v23, v42, v23
	v_add_f16_e32 v42, v41, v14
	v_add_f16_e32 v3, v4, v3
	v_mul_f16_e32 v4, 0xbbeb, v39
	v_fmac_f16_e32 v11, 0x3853, v15
	v_add_f16_e32 v32, v32, v34
	v_add_f16_e32 v34, v45, v40
	v_fmamk_f16 v40, v46, 0x3abb, v36
	v_fma_f16 v36, v46, 0x3abb, -v36
	v_sub_f16_e32 v14, v41, v14
	v_mul_f16_e32 v15, 0xb08e, v3
	v_fmamk_f16 v41, v42, 0xb08e, v4
	v_add_f16_e32 v9, v11, v9
	v_mul_f16_e32 v11, 0x3482, v39
	v_add_f16_e32 v16, v36, v16
	v_fmamk_f16 v36, v14, 0x3beb, v15
	v_add_f16_e32 v17, v41, v17
	v_fmac_f16_e32 v15, 0xbbeb, v14
	v_fmamk_f16 v41, v42, 0xbbad, v11
	v_fma_f16 v4, v42, 0xb08e, -v4
	v_add_f16_e32 v10, v36, v10
	v_mul_f16_e32 v36, 0xbbad, v3
	v_add_f16_e32 v15, v15, v18
	v_add_f16_e32 v18, v41, v19
	v_mul_f16_e32 v19, 0x3b47, v39
	v_add_f16_e32 v40, v40, v43
	v_add_f16_e32 v4, v4, v21
	v_fmamk_f16 v21, v14, 0xb482, v36
	v_fma_f16 v11, v42, 0xbbad, -v11
	v_fmac_f16_e32 v36, 0x3482, v14
	v_mul_f16_e32 v41, 0x36a6, v3
	v_fmamk_f16 v43, v42, 0x36a6, v19
	v_add_f16_e32 v20, v21, v20
	v_add_f16_e32 v11, v11, v22
	;; [unrolled: 1-line block ×3, first 2 shown]
	v_fmamk_f16 v22, v14, 0xbb47, v41
	v_add_f16_e32 v24, v43, v25
	v_mul_f16_e32 v25, 0xb853, v39
	v_fma_f16 v19, v42, 0x36a6, -v19
	v_fmac_f16_e32 v41, 0x3b47, v14
	v_add_f16_e32 v22, v22, v33
	v_mul_f16_e32 v33, 0x3abb, v3
	v_fmamk_f16 v36, v42, 0x3abb, v25
	v_add_f16_e32 v19, v19, v31
	v_add_f16_e32 v31, v41, v32
	v_mul_f16_e32 v32, 0xba0c, v39
	v_fmamk_f16 v39, v14, 0x3853, v33
	v_add_f16_e32 v34, v36, v34
	v_fma_f16 v25, v42, 0x3abb, -v25
	v_fmac_f16_e32 v33, 0xb853, v14
	v_fmamk_f16 v36, v42, 0xb93d, v32
	v_mul_f16_e32 v3, 0xb93d, v3
	v_add_f16_e32 v35, v39, v35
	v_add_f16_e32 v25, v25, v26
	;; [unrolled: 1-line block ×4, first 2 shown]
	v_sub_f16_e32 v36, v6, v2
	v_add_f16_e32 v2, v6, v2
	v_fmamk_f16 v38, v14, 0x3a0c, v3
	v_fma_f16 v32, v42, 0xb93d, -v32
	v_add_f16_e32 v6, v37, v13
	v_mul_f16_e32 v39, 0xba0c, v36
	v_fmac_f16_e32 v3, 0xba0c, v14
	v_sub_f16_e32 v13, v37, v13
	v_mul_f16_e32 v14, 0xb93d, v2
	v_add_f16_e32 v16, v32, v16
	v_fmamk_f16 v37, v6, 0xb93d, v39
	v_add_f16_e32 v3, v3, v9
	v_mul_f16_e32 v32, 0x3beb, v36
	v_fmamk_f16 v9, v13, 0x3a0c, v14
	v_fmac_f16_e32 v14, 0xba0c, v13
	v_add_f16_e32 v23, v38, v23
	v_add_f16_e32 v17, v37, v17
	v_fma_f16 v37, v6, 0xb93d, -v39
	v_add_f16_e32 v9, v9, v10
	v_fmamk_f16 v10, v6, 0xb08e, v32
	v_mul_f16_e32 v38, 0xb08e, v2
	v_add_f16_e32 v14, v14, v15
	v_mul_f16_e32 v15, 0xb853, v36
	v_add_f16_e32 v4, v37, v4
	v_add_f16_e32 v10, v10, v18
	v_fmamk_f16 v18, v13, 0xbbeb, v38
	v_fma_f16 v32, v6, 0xb08e, -v32
	v_fmac_f16_e32 v38, 0x3beb, v13
	v_fmamk_f16 v37, v6, 0x3abb, v15
	v_mul_f16_e32 v39, 0x3abb, v2
	v_add_f16_e32 v18, v18, v20
	v_add_f16_e32 v11, v32, v11
	;; [unrolled: 1-line block ×4, first 2 shown]
	v_fmamk_f16 v24, v13, 0x3853, v39
	v_mul_f16_e32 v32, 0xb482, v36
	v_fma_f16 v15, v6, 0x3abb, -v15
	v_mul_f16_e32 v37, 0xbbad, v2
	v_mul_f16_e32 v36, 0x3b47, v36
	v_add_f16_e32 v22, v24, v22
	v_fmamk_f16 v24, v6, 0xbbad, v32
	v_fma_f16 v32, v6, 0xbbad, -v32
	v_add_f16_e32 v15, v15, v19
	v_fmamk_f16 v19, v13, 0x3482, v37
	v_fmac_f16_e32 v37, 0xb482, v13
	v_add_f16_e32 v24, v24, v34
	v_add_f16_e32 v25, v32, v25
	v_sub_f16_e32 v32, v0, v1
	v_add_f16_e32 v19, v19, v35
	v_fmamk_f16 v34, v6, 0x36a6, v36
	v_mul_f16_e32 v2, 0x36a6, v2
	v_add_f16_e32 v26, v37, v26
	v_add_f16_e32 v35, v5, v12
	v_mul_f16_e32 v37, 0xb482, v32
	v_add_f16_e32 v0, v0, v1
	v_add_f16_e32 v33, v34, v33
	v_fmamk_f16 v34, v13, 0xbb47, v2
	v_fma_f16 v1, v6, 0x36a6, -v36
	v_fmac_f16_e32 v2, 0x3b47, v13
	v_sub_f16_e32 v5, v5, v12
	v_fmamk_f16 v6, v35, 0xbbad, v37
	v_mul_f16_e32 v12, 0xbbad, v0
	v_add_f16_e32 v1, v1, v16
	v_add_f16_e32 v2, v2, v3
	v_mul_f16_e32 v16, 0x3853, v32
	v_add_f16_e32 v3, v6, v17
	v_fmamk_f16 v6, v5, 0x3482, v12
	v_fmac_f16_e32 v39, 0xb853, v13
	v_add_f16_e32 v13, v34, v23
	v_fma_f16 v17, v35, 0xbbad, -v37
	v_fmac_f16_e32 v12, 0xb482, v5
	v_mul_f16_e32 v23, 0x3abb, v0
	v_add_f16_e32 v6, v6, v9
	v_fmamk_f16 v9, v35, 0x3abb, v16
	v_add_f16_e32 v4, v17, v4
	v_add_f16_e32 v12, v12, v14
	v_fmamk_f16 v14, v5, 0xb853, v23
	v_mul_f16_e32 v17, 0xba0c, v32
	v_add_f16_e32 v9, v9, v10
	v_fma_f16 v10, v35, 0x3abb, -v16
	v_fmac_f16_e32 v23, 0x3853, v5
	v_add_f16_e32 v14, v14, v18
	v_fmamk_f16 v16, v35, 0xb93d, v17
	v_mul_f16_e32 v18, 0xb93d, v0
	v_add_f16_e32 v10, v10, v11
	v_add_f16_e32 v11, v23, v20
	v_mul_f16_e32 v20, 0x3b47, v32
	v_add_f16_e32 v31, v39, v31
	v_add_f16_e32 v16, v16, v21
	v_fmamk_f16 v21, v5, 0x3a0c, v18
	v_fma_f16 v17, v35, 0xb93d, -v17
	v_fmac_f16_e32 v18, 0xba0c, v5
	v_fmamk_f16 v23, v35, 0x36a6, v20
	v_mul_f16_e32 v34, 0x36a6, v0
	v_fma_f16 v20, v35, 0x36a6, -v20
	v_add_f16_e32 v15, v17, v15
	v_add_f16_e32 v17, v18, v31
	;; [unrolled: 1-line block ×3, first 2 shown]
	v_mul_f16_e32 v23, 0xbbeb, v32
	v_mul_f16_e32 v0, 0xb08e, v0
	v_add_f16_e32 v21, v21, v22
	v_fmamk_f16 v22, v5, 0xbb47, v34
	v_add_f16_e32 v20, v20, v25
	v_fmamk_f16 v24, v35, 0xb08e, v23
	v_fmamk_f16 v25, v5, 0x3beb, v0
	v_fmac_f16_e32 v34, 0x3b47, v5
	v_fma_f16 v23, v35, 0xb08e, -v23
	v_fmac_f16_e32 v0, 0xbbeb, v5
	v_pack_b32_f16 v3, v3, v6
	v_add_f16_e32 v19, v22, v19
	v_add_f16_e32 v5, v24, v33
	;; [unrolled: 1-line block ×6, first 2 shown]
	ds_write2_b32 v30, v7, v3 offset1:17
	v_pack_b32_f16 v2, v9, v14
	v_pack_b32_f16 v3, v16, v21
	;; [unrolled: 1-line block ×9, first 2 shown]
	ds_write2_b32 v30, v2, v3 offset0:34 offset1:51
	ds_write2_b32 v30, v7, v5 offset0:68 offset1:85
	;; [unrolled: 1-line block ×4, first 2 shown]
	ds_write_b32 v30, v4 offset:680
	s_waitcnt lgkmcnt(0)
	s_barrier
	buffer_gl0_inv
	s_and_b32 exec_lo, exec_lo, vcc_lo
	s_cbranch_execz .LBB0_15
; %bb.14:
	global_load_dword v0, v28, s[12:13]
	ds_read_b32 v1, v30
	s_mov_b32 s8, 0xb8d015e7
	s_mov_b32 s9, 0x3f75e75b
	v_mad_u64_u32 v[6:7], null, s4, v29, 0
	s_mul_hi_u32 s3, s4, 44
	s_waitcnt lgkmcnt(0)
	v_lshrrev_b32_e32 v2, 16, v1
	s_waitcnt vmcnt(0)
	v_mul_f16_sdwa v3, v2, v0 dst_sel:DWORD dst_unused:UNUSED_PAD src0_sel:DWORD src1_sel:WORD_1
	v_mul_f16_sdwa v4, v1, v0 dst_sel:DWORD dst_unused:UNUSED_PAD src0_sel:DWORD src1_sel:WORD_1
	v_fmac_f16_e32 v3, v1, v0
	v_fma_f16 v0, v0, v2, -v4
	v_mad_u64_u32 v[4:5], null, s6, v8, 0
	s_mul_i32 s6, s4, 44
	v_cvt_f32_f16_e32 v1, v3
	v_cvt_f32_f16_e32 v2, v0
	v_cvt_f64_f32_e32 v[0:1], v1
	v_cvt_f64_f32_e32 v[2:3], v2
	v_mul_f64 v[0:1], v[0:1], s[8:9]
	v_mul_f64 v[2:3], v[2:3], s[8:9]
	v_and_or_b32 v0, 0x1ff, v1, v0
	v_and_or_b32 v2, 0x1ff, v3, v2
	v_lshrrev_b32_e32 v9, 8, v1
	v_bfe_u32 v10, v1, 20, 11
	v_bfe_u32 v12, v3, 20, 11
	v_cmp_ne_u32_e32 vcc_lo, 0, v0
	v_lshrrev_b32_e32 v11, 8, v3
	v_mov_b32_e32 v0, v7
	v_sub_nc_u32_e32 v14, 0x3f1, v10
	v_sub_nc_u32_e32 v15, 0x3f1, v12
	v_cndmask_b32_e64 v13, 0, 1, vcc_lo
	v_cmp_ne_u32_e32 vcc_lo, 0, v2
	v_mad_u64_u32 v[7:8], null, s7, v8, v[5:6]
	v_add_nc_u32_e32 v10, 0xfffffc10, v10
	v_and_or_b32 v13, 0xffe, v9, v13
	v_cndmask_b32_e64 v2, 0, 1, vcc_lo
	v_mad_u64_u32 v[8:9], null, s5, v29, v[0:1]
	v_add_nc_u32_e32 v12, 0xfffffc10, v12
	v_mov_b32_e32 v5, v7
	v_and_or_b32 v2, 0xffe, v11, v2
	v_med3_i32 v11, v14, 0, 13
	v_med3_i32 v14, v15, 0, 13
	v_or_b32_e32 v15, 0x1000, v13
	v_mov_b32_e32 v7, v8
	v_or_b32_e32 v16, 0x1000, v2
	v_lshrrev_b32_e32 v1, 16, v1
	v_lshlrev_b64 v[4:5], 2, v[4:5]
	v_lshrrev_b32_e32 v0, v11, v15
	v_lshrrev_b32_e32 v3, 16, v3
	;; [unrolled: 1-line block ×3, first 2 shown]
	v_lshlrev_b64 v[6:7], 2, v[6:7]
	v_lshlrev_b32_e32 v11, v11, v0
	v_lshlrev_b32_e32 v8, v14, v9
	v_lshl_or_b32 v14, v10, 12, v13
	v_cmp_ne_u32_e32 vcc_lo, v11, v15
	v_cndmask_b32_e64 v11, 0, 1, vcc_lo
	v_cmp_ne_u32_e32 vcc_lo, v8, v16
	v_or_b32_e32 v0, v0, v11
	v_cndmask_b32_e64 v8, 0, 1, vcc_lo
	v_cmp_gt_i32_e32 vcc_lo, 1, v10
	v_lshl_or_b32 v11, v12, 12, v2
	v_or_b32_e32 v8, v9, v8
	v_cndmask_b32_e32 v0, v14, v0, vcc_lo
	v_cmp_gt_i32_e32 vcc_lo, 1, v12
	v_cndmask_b32_e32 v8, v11, v8, vcc_lo
	v_cmp_ne_u32_e32 vcc_lo, 0, v13
	v_and_b32_e32 v11, 7, v0
	v_lshrrev_b32_e32 v0, 2, v0
	v_and_b32_e32 v13, 7, v8
	v_cndmask_b32_e64 v9, 0, 1, vcc_lo
	v_cmp_ne_u32_e32 vcc_lo, 0, v2
	v_cmp_eq_u32_e64 s0, 3, v11
	v_lshrrev_b32_e32 v8, 2, v8
	v_cmp_lt_i32_e64 s1, 5, v13
	v_cmp_eq_u32_e64 s2, 3, v13
	v_cndmask_b32_e64 v2, 0, 1, vcc_lo
	v_cmp_lt_i32_e32 vcc_lo, 5, v11
	v_lshl_or_b32 v9, v9, 9, 0x7c00
	v_lshl_or_b32 v2, v2, 9, 0x7c00
	s_or_b32 vcc_lo, s0, vcc_lo
	v_add_co_ci_u32_e32 v0, vcc_lo, 0, v0, vcc_lo
	s_or_b32 vcc_lo, s2, s1
	v_add_co_ci_u32_e32 v8, vcc_lo, 0, v8, vcc_lo
	v_cmp_gt_i32_e32 vcc_lo, 31, v10
	v_cndmask_b32_e32 v0, 0x7c00, v0, vcc_lo
	v_cmp_gt_i32_e32 vcc_lo, 31, v12
	v_cndmask_b32_e32 v8, 0x7c00, v8, vcc_lo
	v_cmp_eq_u32_e32 vcc_lo, 0x40f, v10
	v_cndmask_b32_e32 v0, v0, v9, vcc_lo
	v_cmp_eq_u32_e32 vcc_lo, 0x40f, v12
	v_cndmask_b32_e32 v2, v8, v2, vcc_lo
	v_and_or_b32 v8, 0x8000, v1, v0
	v_add_co_u32 v0, vcc_lo, s14, v4
	v_add_co_ci_u32_e32 v1, vcc_lo, s15, v5, vcc_lo
	v_and_or_b32 v4, 0x8000, v3, v2
	v_and_b32_e32 v5, 0xffff, v8
	v_add_co_u32 v2, vcc_lo, v0, v6
	v_add_co_ci_u32_e32 v3, vcc_lo, v1, v7, vcc_lo
	v_lshl_or_b32 v4, v4, 16, v5
	global_store_dword v[2:3], v4, off
	global_load_dword v6, v28, s[12:13] offset:44
	ds_read2_b32 v[4:5], v30 offset0:11 offset1:22
	s_waitcnt lgkmcnt(0)
	v_lshrrev_b32_e32 v7, 16, v4
	s_waitcnt vmcnt(0)
	v_mul_f16_sdwa v8, v7, v6 dst_sel:DWORD dst_unused:UNUSED_PAD src0_sel:DWORD src1_sel:WORD_1
	v_mul_f16_sdwa v9, v4, v6 dst_sel:DWORD dst_unused:UNUSED_PAD src0_sel:DWORD src1_sel:WORD_1
	v_fmac_f16_e32 v8, v4, v6
	v_fma_f16 v4, v6, v7, -v9
	v_cvt_f32_f16_e32 v6, v8
	v_cvt_f32_f16_e32 v4, v4
	v_cvt_f64_f32_e32 v[6:7], v6
	v_cvt_f64_f32_e32 v[8:9], v4
	v_mul_f64 v[6:7], v[6:7], s[8:9]
	v_mul_f64 v[8:9], v[8:9], s[8:9]
	v_and_or_b32 v4, 0x1ff, v7, v6
	v_and_or_b32 v8, 0x1ff, v9, v8
	v_lshrrev_b32_e32 v6, 8, v7
	v_bfe_u32 v10, v7, 20, 11
	v_lshrrev_b32_e32 v11, 8, v9
	v_cmp_ne_u32_e32 vcc_lo, 0, v4
	v_bfe_u32 v12, v9, 20, 11
	v_lshrrev_b32_e32 v7, 16, v7
	v_sub_nc_u32_e32 v13, 0x3f1, v10
	v_add_nc_u32_e32 v10, 0xfffffc10, v10
	v_cndmask_b32_e64 v4, 0, 1, vcc_lo
	v_cmp_ne_u32_e32 vcc_lo, 0, v8
	v_lshrrev_b32_e32 v9, 16, v9
	v_and_or_b32 v4, 0xffe, v6, v4
	v_cndmask_b32_e64 v8, 0, 1, vcc_lo
	v_sub_nc_u32_e32 v6, 0x3f1, v12
	v_add_nc_u32_e32 v12, 0xfffffc10, v12
	v_and_or_b32 v8, 0xffe, v11, v8
	v_med3_i32 v11, v13, 0, 13
	v_or_b32_e32 v13, 0x1000, v4
	v_med3_i32 v6, v6, 0, 13
	v_or_b32_e32 v14, 0x1000, v8
	v_lshrrev_b32_e32 v15, v11, v13
	v_lshrrev_b32_e32 v16, v6, v14
	v_lshlrev_b32_e32 v11, v11, v15
	v_lshlrev_b32_e32 v6, v6, v16
	v_cmp_ne_u32_e32 vcc_lo, v11, v13
	v_lshl_or_b32 v13, v10, 12, v4
	v_cndmask_b32_e64 v11, 0, 1, vcc_lo
	v_cmp_ne_u32_e32 vcc_lo, v6, v14
	v_lshl_or_b32 v14, v12, 12, v8
	v_or_b32_e32 v11, v15, v11
	v_cndmask_b32_e64 v6, 0, 1, vcc_lo
	v_cmp_gt_i32_e32 vcc_lo, 1, v10
	v_or_b32_e32 v6, v16, v6
	v_cndmask_b32_e32 v11, v13, v11, vcc_lo
	v_cmp_gt_i32_e32 vcc_lo, 1, v12
	v_and_b32_e32 v13, 7, v11
	v_cndmask_b32_e32 v6, v14, v6, vcc_lo
	v_cmp_ne_u32_e32 vcc_lo, 0, v4
	v_lshrrev_b32_e32 v11, 2, v11
	v_cmp_eq_u32_e64 s0, 3, v13
	v_and_b32_e32 v14, 7, v6
	v_cndmask_b32_e64 v4, 0, 1, vcc_lo
	v_cmp_ne_u32_e32 vcc_lo, 0, v8
	v_lshrrev_b32_e32 v6, 2, v6
	v_cmp_lt_i32_e64 s1, 5, v14
	v_cmp_eq_u32_e64 s2, 3, v14
	v_cndmask_b32_e64 v8, 0, 1, vcc_lo
	v_cmp_lt_i32_e32 vcc_lo, 5, v13
	v_lshl_or_b32 v4, v4, 9, 0x7c00
	v_lshl_or_b32 v8, v8, 9, 0x7c00
	s_or_b32 vcc_lo, s0, vcc_lo
	s_mul_i32 s0, s5, 44
	v_add_co_ci_u32_e32 v11, vcc_lo, 0, v11, vcc_lo
	s_or_b32 vcc_lo, s2, s1
	s_add_i32 s3, s3, s0
	v_add_co_ci_u32_e32 v6, vcc_lo, 0, v6, vcc_lo
	v_cmp_gt_i32_e32 vcc_lo, 31, v10
	v_cndmask_b32_e32 v11, 0x7c00, v11, vcc_lo
	v_cmp_gt_i32_e32 vcc_lo, 31, v12
	v_cndmask_b32_e32 v6, 0x7c00, v6, vcc_lo
	v_cmp_eq_u32_e32 vcc_lo, 0x40f, v10
	v_cndmask_b32_e32 v4, v11, v4, vcc_lo
	v_cmp_eq_u32_e32 vcc_lo, 0x40f, v12
	v_and_or_b32 v4, 0x8000, v7, v4
	v_cndmask_b32_e32 v6, v6, v8, vcc_lo
	v_add_co_u32 v2, vcc_lo, v2, s6
	v_add_co_ci_u32_e32 v3, vcc_lo, s3, v3, vcc_lo
	v_and_or_b32 v6, 0x8000, v9, v6
	v_and_b32_e32 v4, 0xffff, v4
	v_lshl_or_b32 v4, v6, 16, v4
	v_lshrrev_b32_e32 v6, 16, v5
	global_store_dword v[2:3], v4, off
	global_load_dword v4, v28, s[12:13] offset:88
	s_waitcnt vmcnt(0)
	v_mul_f16_sdwa v7, v6, v4 dst_sel:DWORD dst_unused:UNUSED_PAD src0_sel:DWORD src1_sel:WORD_1
	v_mul_f16_sdwa v8, v5, v4 dst_sel:DWORD dst_unused:UNUSED_PAD src0_sel:DWORD src1_sel:WORD_1
	v_fmac_f16_e32 v7, v5, v4
	v_fma_f16 v4, v4, v6, -v8
	v_cvt_f32_f16_e32 v5, v7
	v_cvt_f32_f16_e32 v6, v4
	v_cvt_f64_f32_e32 v[4:5], v5
	v_cvt_f64_f32_e32 v[6:7], v6
	v_mul_f64 v[4:5], v[4:5], s[8:9]
	v_mul_f64 v[6:7], v[6:7], s[8:9]
	v_and_or_b32 v4, 0x1ff, v5, v4
	v_and_or_b32 v6, 0x1ff, v7, v6
	v_lshrrev_b32_e32 v8, 8, v5
	v_bfe_u32 v9, v5, 20, 11
	v_lshrrev_b32_e32 v10, 8, v7
	v_cmp_ne_u32_e32 vcc_lo, 0, v4
	v_bfe_u32 v11, v7, 20, 11
	v_lshrrev_b32_e32 v5, 16, v5
	v_sub_nc_u32_e32 v12, 0x3f1, v9
	v_add_nc_u32_e32 v9, 0xfffffc10, v9
	v_cndmask_b32_e64 v4, 0, 1, vcc_lo
	v_cmp_ne_u32_e32 vcc_lo, 0, v6
	v_lshrrev_b32_e32 v7, 16, v7
	v_and_or_b32 v4, 0xffe, v8, v4
	v_cndmask_b32_e64 v6, 0, 1, vcc_lo
	v_sub_nc_u32_e32 v8, 0x3f1, v11
	v_add_nc_u32_e32 v11, 0xfffffc10, v11
	v_and_or_b32 v6, 0xffe, v10, v6
	v_med3_i32 v10, v12, 0, 13
	v_or_b32_e32 v12, 0x1000, v4
	v_med3_i32 v8, v8, 0, 13
	v_or_b32_e32 v13, 0x1000, v6
	v_lshrrev_b32_e32 v14, v10, v12
	v_lshrrev_b32_e32 v15, v8, v13
	v_lshlrev_b32_e32 v10, v10, v14
	v_lshlrev_b32_e32 v8, v8, v15
	v_cmp_ne_u32_e32 vcc_lo, v10, v12
	v_lshl_or_b32 v12, v9, 12, v4
	v_cndmask_b32_e64 v10, 0, 1, vcc_lo
	v_cmp_ne_u32_e32 vcc_lo, v8, v13
	v_lshl_or_b32 v13, v11, 12, v6
	v_or_b32_e32 v10, v14, v10
	v_cndmask_b32_e64 v8, 0, 1, vcc_lo
	v_cmp_gt_i32_e32 vcc_lo, 1, v9
	v_or_b32_e32 v8, v15, v8
	v_cndmask_b32_e32 v10, v12, v10, vcc_lo
	v_cmp_gt_i32_e32 vcc_lo, 1, v11
	v_and_b32_e32 v12, 7, v10
	v_cndmask_b32_e32 v8, v13, v8, vcc_lo
	v_cmp_ne_u32_e32 vcc_lo, 0, v4
	v_lshrrev_b32_e32 v10, 2, v10
	v_cmp_eq_u32_e64 s0, 3, v12
	v_and_b32_e32 v13, 7, v8
	v_cndmask_b32_e64 v4, 0, 1, vcc_lo
	v_cmp_ne_u32_e32 vcc_lo, 0, v6
	v_lshrrev_b32_e32 v8, 2, v8
	v_cmp_lt_i32_e64 s1, 5, v13
	v_cmp_eq_u32_e64 s2, 3, v13
	v_cndmask_b32_e64 v6, 0, 1, vcc_lo
	v_cmp_lt_i32_e32 vcc_lo, 5, v12
	v_lshl_or_b32 v4, v4, 9, 0x7c00
	v_lshl_or_b32 v6, v6, 9, 0x7c00
	s_or_b32 vcc_lo, s0, vcc_lo
	v_add_co_ci_u32_e32 v10, vcc_lo, 0, v10, vcc_lo
	s_or_b32 vcc_lo, s2, s1
	v_add_co_ci_u32_e32 v8, vcc_lo, 0, v8, vcc_lo
	v_cmp_gt_i32_e32 vcc_lo, 31, v9
	v_cndmask_b32_e32 v10, 0x7c00, v10, vcc_lo
	v_cmp_gt_i32_e32 vcc_lo, 31, v11
	v_cndmask_b32_e32 v8, 0x7c00, v8, vcc_lo
	v_cmp_eq_u32_e32 vcc_lo, 0x40f, v9
	v_cndmask_b32_e32 v4, v10, v4, vcc_lo
	v_cmp_eq_u32_e32 vcc_lo, 0x40f, v11
	v_and_or_b32 v4, 0x8000, v5, v4
	v_cndmask_b32_e32 v6, v8, v6, vcc_lo
	v_add_co_u32 v2, vcc_lo, v2, s6
	v_add_co_ci_u32_e32 v3, vcc_lo, s3, v3, vcc_lo
	v_and_or_b32 v5, 0x8000, v7, v6
	v_and_b32_e32 v4, 0xffff, v4
	v_lshl_or_b32 v4, v5, 16, v4
	global_store_dword v[2:3], v4, off
	global_load_dword v6, v28, s[12:13] offset:132
	ds_read2_b32 v[4:5], v30 offset0:33 offset1:44
	s_waitcnt lgkmcnt(0)
	v_lshrrev_b32_e32 v7, 16, v4
	s_waitcnt vmcnt(0)
	v_mul_f16_sdwa v8, v7, v6 dst_sel:DWORD dst_unused:UNUSED_PAD src0_sel:DWORD src1_sel:WORD_1
	v_mul_f16_sdwa v9, v4, v6 dst_sel:DWORD dst_unused:UNUSED_PAD src0_sel:DWORD src1_sel:WORD_1
	v_fmac_f16_e32 v8, v4, v6
	v_fma_f16 v4, v6, v7, -v9
	v_cvt_f32_f16_e32 v6, v8
	v_cvt_f32_f16_e32 v4, v4
	v_cvt_f64_f32_e32 v[6:7], v6
	v_cvt_f64_f32_e32 v[8:9], v4
	v_mul_f64 v[6:7], v[6:7], s[8:9]
	v_mul_f64 v[8:9], v[8:9], s[8:9]
	v_and_or_b32 v4, 0x1ff, v7, v6
	v_and_or_b32 v8, 0x1ff, v9, v8
	v_lshrrev_b32_e32 v6, 8, v7
	v_bfe_u32 v10, v7, 20, 11
	v_lshrrev_b32_e32 v11, 8, v9
	v_cmp_ne_u32_e32 vcc_lo, 0, v4
	v_bfe_u32 v12, v9, 20, 11
	v_lshrrev_b32_e32 v7, 16, v7
	v_sub_nc_u32_e32 v13, 0x3f1, v10
	v_add_nc_u32_e32 v10, 0xfffffc10, v10
	v_cndmask_b32_e64 v4, 0, 1, vcc_lo
	v_cmp_ne_u32_e32 vcc_lo, 0, v8
	v_lshrrev_b32_e32 v9, 16, v9
	v_and_or_b32 v4, 0xffe, v6, v4
	v_cndmask_b32_e64 v8, 0, 1, vcc_lo
	v_sub_nc_u32_e32 v6, 0x3f1, v12
	v_add_nc_u32_e32 v12, 0xfffffc10, v12
	v_and_or_b32 v8, 0xffe, v11, v8
	v_med3_i32 v11, v13, 0, 13
	v_or_b32_e32 v13, 0x1000, v4
	v_med3_i32 v6, v6, 0, 13
	v_or_b32_e32 v14, 0x1000, v8
	v_lshrrev_b32_e32 v15, v11, v13
	v_lshrrev_b32_e32 v16, v6, v14
	v_lshlrev_b32_e32 v11, v11, v15
	v_lshlrev_b32_e32 v6, v6, v16
	v_cmp_ne_u32_e32 vcc_lo, v11, v13
	v_lshl_or_b32 v13, v10, 12, v4
	v_cndmask_b32_e64 v11, 0, 1, vcc_lo
	v_cmp_ne_u32_e32 vcc_lo, v6, v14
	v_lshl_or_b32 v14, v12, 12, v8
	v_or_b32_e32 v11, v15, v11
	v_cndmask_b32_e64 v6, 0, 1, vcc_lo
	v_cmp_gt_i32_e32 vcc_lo, 1, v10
	v_or_b32_e32 v6, v16, v6
	v_cndmask_b32_e32 v11, v13, v11, vcc_lo
	v_cmp_gt_i32_e32 vcc_lo, 1, v12
	v_and_b32_e32 v13, 7, v11
	v_cndmask_b32_e32 v6, v14, v6, vcc_lo
	v_cmp_ne_u32_e32 vcc_lo, 0, v4
	v_lshrrev_b32_e32 v11, 2, v11
	v_cmp_eq_u32_e64 s0, 3, v13
	v_and_b32_e32 v14, 7, v6
	v_cndmask_b32_e64 v4, 0, 1, vcc_lo
	v_cmp_ne_u32_e32 vcc_lo, 0, v8
	v_lshrrev_b32_e32 v6, 2, v6
	v_cmp_lt_i32_e64 s1, 5, v14
	v_cmp_eq_u32_e64 s2, 3, v14
	v_cndmask_b32_e64 v8, 0, 1, vcc_lo
	v_cmp_lt_i32_e32 vcc_lo, 5, v13
	v_lshl_or_b32 v4, v4, 9, 0x7c00
	v_lshl_or_b32 v8, v8, 9, 0x7c00
	s_or_b32 vcc_lo, s0, vcc_lo
	v_add_co_ci_u32_e32 v11, vcc_lo, 0, v11, vcc_lo
	s_or_b32 vcc_lo, s2, s1
	v_add_co_ci_u32_e32 v6, vcc_lo, 0, v6, vcc_lo
	v_cmp_gt_i32_e32 vcc_lo, 31, v10
	v_cndmask_b32_e32 v11, 0x7c00, v11, vcc_lo
	v_cmp_gt_i32_e32 vcc_lo, 31, v12
	v_cndmask_b32_e32 v6, 0x7c00, v6, vcc_lo
	v_cmp_eq_u32_e32 vcc_lo, 0x40f, v10
	v_cndmask_b32_e32 v4, v11, v4, vcc_lo
	v_cmp_eq_u32_e32 vcc_lo, 0x40f, v12
	v_and_or_b32 v4, 0x8000, v7, v4
	v_cndmask_b32_e32 v6, v6, v8, vcc_lo
	v_add_co_u32 v2, vcc_lo, v2, s6
	v_add_co_ci_u32_e32 v3, vcc_lo, s3, v3, vcc_lo
	v_and_or_b32 v6, 0x8000, v9, v6
	v_and_b32_e32 v4, 0xffff, v4
	v_lshl_or_b32 v4, v6, 16, v4
	v_lshrrev_b32_e32 v6, 16, v5
	global_store_dword v[2:3], v4, off
	global_load_dword v4, v28, s[12:13] offset:176
	s_waitcnt vmcnt(0)
	v_mul_f16_sdwa v7, v6, v4 dst_sel:DWORD dst_unused:UNUSED_PAD src0_sel:DWORD src1_sel:WORD_1
	v_mul_f16_sdwa v8, v5, v4 dst_sel:DWORD dst_unused:UNUSED_PAD src0_sel:DWORD src1_sel:WORD_1
	v_fmac_f16_e32 v7, v5, v4
	v_fma_f16 v4, v4, v6, -v8
	v_cvt_f32_f16_e32 v5, v7
	v_cvt_f32_f16_e32 v6, v4
	v_cvt_f64_f32_e32 v[4:5], v5
	v_cvt_f64_f32_e32 v[6:7], v6
	v_mul_f64 v[4:5], v[4:5], s[8:9]
	v_mul_f64 v[6:7], v[6:7], s[8:9]
	v_and_or_b32 v4, 0x1ff, v5, v4
	v_and_or_b32 v6, 0x1ff, v7, v6
	v_lshrrev_b32_e32 v8, 8, v5
	v_bfe_u32 v9, v5, 20, 11
	v_lshrrev_b32_e32 v10, 8, v7
	v_cmp_ne_u32_e32 vcc_lo, 0, v4
	v_bfe_u32 v11, v7, 20, 11
	v_lshrrev_b32_e32 v5, 16, v5
	v_sub_nc_u32_e32 v12, 0x3f1, v9
	v_add_nc_u32_e32 v9, 0xfffffc10, v9
	v_cndmask_b32_e64 v4, 0, 1, vcc_lo
	v_cmp_ne_u32_e32 vcc_lo, 0, v6
	v_lshrrev_b32_e32 v7, 16, v7
	v_and_or_b32 v4, 0xffe, v8, v4
	v_cndmask_b32_e64 v6, 0, 1, vcc_lo
	v_sub_nc_u32_e32 v8, 0x3f1, v11
	v_add_nc_u32_e32 v11, 0xfffffc10, v11
	v_and_or_b32 v6, 0xffe, v10, v6
	v_med3_i32 v10, v12, 0, 13
	v_or_b32_e32 v12, 0x1000, v4
	v_med3_i32 v8, v8, 0, 13
	v_or_b32_e32 v13, 0x1000, v6
	v_lshrrev_b32_e32 v14, v10, v12
	v_lshrrev_b32_e32 v15, v8, v13
	v_lshlrev_b32_e32 v10, v10, v14
	v_lshlrev_b32_e32 v8, v8, v15
	v_cmp_ne_u32_e32 vcc_lo, v10, v12
	v_lshl_or_b32 v12, v9, 12, v4
	v_cndmask_b32_e64 v10, 0, 1, vcc_lo
	v_cmp_ne_u32_e32 vcc_lo, v8, v13
	v_lshl_or_b32 v13, v11, 12, v6
	v_or_b32_e32 v10, v14, v10
	v_cndmask_b32_e64 v8, 0, 1, vcc_lo
	v_cmp_gt_i32_e32 vcc_lo, 1, v9
	v_or_b32_e32 v8, v15, v8
	v_cndmask_b32_e32 v10, v12, v10, vcc_lo
	v_cmp_gt_i32_e32 vcc_lo, 1, v11
	v_and_b32_e32 v12, 7, v10
	v_cndmask_b32_e32 v8, v13, v8, vcc_lo
	v_cmp_ne_u32_e32 vcc_lo, 0, v4
	v_lshrrev_b32_e32 v10, 2, v10
	v_cmp_eq_u32_e64 s0, 3, v12
	v_and_b32_e32 v13, 7, v8
	v_cndmask_b32_e64 v4, 0, 1, vcc_lo
	v_cmp_ne_u32_e32 vcc_lo, 0, v6
	v_lshrrev_b32_e32 v8, 2, v8
	v_cmp_lt_i32_e64 s1, 5, v13
	v_cmp_eq_u32_e64 s2, 3, v13
	v_cndmask_b32_e64 v6, 0, 1, vcc_lo
	v_cmp_lt_i32_e32 vcc_lo, 5, v12
	v_lshl_or_b32 v4, v4, 9, 0x7c00
	v_lshl_or_b32 v6, v6, 9, 0x7c00
	s_or_b32 vcc_lo, s0, vcc_lo
	v_add_co_ci_u32_e32 v10, vcc_lo, 0, v10, vcc_lo
	s_or_b32 vcc_lo, s2, s1
	v_add_co_ci_u32_e32 v8, vcc_lo, 0, v8, vcc_lo
	v_cmp_gt_i32_e32 vcc_lo, 31, v9
	v_cndmask_b32_e32 v10, 0x7c00, v10, vcc_lo
	v_cmp_gt_i32_e32 vcc_lo, 31, v11
	v_cndmask_b32_e32 v8, 0x7c00, v8, vcc_lo
	v_cmp_eq_u32_e32 vcc_lo, 0x40f, v9
	v_cndmask_b32_e32 v4, v10, v4, vcc_lo
	v_cmp_eq_u32_e32 vcc_lo, 0x40f, v11
	v_and_or_b32 v4, 0x8000, v5, v4
	v_cndmask_b32_e32 v6, v8, v6, vcc_lo
	v_add_co_u32 v2, vcc_lo, v2, s6
	v_add_co_ci_u32_e32 v3, vcc_lo, s3, v3, vcc_lo
	v_and_or_b32 v5, 0x8000, v7, v6
	v_and_b32_e32 v4, 0xffff, v4
	v_lshl_or_b32 v4, v5, 16, v4
	global_store_dword v[2:3], v4, off
	global_load_dword v6, v28, s[12:13] offset:220
	ds_read2_b32 v[4:5], v30 offset0:55 offset1:66
	s_waitcnt lgkmcnt(0)
	v_lshrrev_b32_e32 v7, 16, v4
	s_waitcnt vmcnt(0)
	v_mul_f16_sdwa v8, v7, v6 dst_sel:DWORD dst_unused:UNUSED_PAD src0_sel:DWORD src1_sel:WORD_1
	v_mul_f16_sdwa v9, v4, v6 dst_sel:DWORD dst_unused:UNUSED_PAD src0_sel:DWORD src1_sel:WORD_1
	v_fmac_f16_e32 v8, v4, v6
	v_fma_f16 v4, v6, v7, -v9
	v_cvt_f32_f16_e32 v6, v8
	v_cvt_f32_f16_e32 v4, v4
	v_cvt_f64_f32_e32 v[6:7], v6
	v_cvt_f64_f32_e32 v[8:9], v4
	v_mul_f64 v[6:7], v[6:7], s[8:9]
	v_mul_f64 v[8:9], v[8:9], s[8:9]
	v_and_or_b32 v4, 0x1ff, v7, v6
	v_and_or_b32 v8, 0x1ff, v9, v8
	v_lshrrev_b32_e32 v6, 8, v7
	v_bfe_u32 v10, v7, 20, 11
	v_lshrrev_b32_e32 v11, 8, v9
	v_cmp_ne_u32_e32 vcc_lo, 0, v4
	v_bfe_u32 v12, v9, 20, 11
	v_lshrrev_b32_e32 v7, 16, v7
	v_sub_nc_u32_e32 v13, 0x3f1, v10
	v_add_nc_u32_e32 v10, 0xfffffc10, v10
	v_cndmask_b32_e64 v4, 0, 1, vcc_lo
	v_cmp_ne_u32_e32 vcc_lo, 0, v8
	v_lshrrev_b32_e32 v9, 16, v9
	v_and_or_b32 v4, 0xffe, v6, v4
	v_cndmask_b32_e64 v8, 0, 1, vcc_lo
	v_sub_nc_u32_e32 v6, 0x3f1, v12
	v_add_nc_u32_e32 v12, 0xfffffc10, v12
	v_and_or_b32 v8, 0xffe, v11, v8
	v_med3_i32 v11, v13, 0, 13
	v_or_b32_e32 v13, 0x1000, v4
	v_med3_i32 v6, v6, 0, 13
	v_or_b32_e32 v14, 0x1000, v8
	v_lshrrev_b32_e32 v15, v11, v13
	v_lshrrev_b32_e32 v16, v6, v14
	v_lshlrev_b32_e32 v11, v11, v15
	v_lshlrev_b32_e32 v6, v6, v16
	v_cmp_ne_u32_e32 vcc_lo, v11, v13
	v_lshl_or_b32 v13, v10, 12, v4
	v_cndmask_b32_e64 v11, 0, 1, vcc_lo
	v_cmp_ne_u32_e32 vcc_lo, v6, v14
	v_lshl_or_b32 v14, v12, 12, v8
	v_or_b32_e32 v11, v15, v11
	v_cndmask_b32_e64 v6, 0, 1, vcc_lo
	v_cmp_gt_i32_e32 vcc_lo, 1, v10
	v_or_b32_e32 v6, v16, v6
	v_cndmask_b32_e32 v11, v13, v11, vcc_lo
	v_cmp_gt_i32_e32 vcc_lo, 1, v12
	v_and_b32_e32 v13, 7, v11
	v_cndmask_b32_e32 v6, v14, v6, vcc_lo
	v_cmp_ne_u32_e32 vcc_lo, 0, v4
	v_lshrrev_b32_e32 v11, 2, v11
	v_cmp_eq_u32_e64 s0, 3, v13
	v_and_b32_e32 v14, 7, v6
	v_cndmask_b32_e64 v4, 0, 1, vcc_lo
	v_cmp_ne_u32_e32 vcc_lo, 0, v8
	v_lshrrev_b32_e32 v6, 2, v6
	v_cmp_lt_i32_e64 s1, 5, v14
	v_cmp_eq_u32_e64 s2, 3, v14
	v_cndmask_b32_e64 v8, 0, 1, vcc_lo
	v_cmp_lt_i32_e32 vcc_lo, 5, v13
	v_lshl_or_b32 v4, v4, 9, 0x7c00
	v_lshl_or_b32 v8, v8, 9, 0x7c00
	s_or_b32 vcc_lo, s0, vcc_lo
	v_add_co_ci_u32_e32 v11, vcc_lo, 0, v11, vcc_lo
	s_or_b32 vcc_lo, s2, s1
	v_add_co_ci_u32_e32 v6, vcc_lo, 0, v6, vcc_lo
	v_cmp_gt_i32_e32 vcc_lo, 31, v10
	v_cndmask_b32_e32 v11, 0x7c00, v11, vcc_lo
	v_cmp_gt_i32_e32 vcc_lo, 31, v12
	v_cndmask_b32_e32 v6, 0x7c00, v6, vcc_lo
	v_cmp_eq_u32_e32 vcc_lo, 0x40f, v10
	v_cndmask_b32_e32 v4, v11, v4, vcc_lo
	v_cmp_eq_u32_e32 vcc_lo, 0x40f, v12
	v_and_or_b32 v4, 0x8000, v7, v4
	v_cndmask_b32_e32 v6, v6, v8, vcc_lo
	v_add_co_u32 v2, vcc_lo, v2, s6
	v_add_co_ci_u32_e32 v3, vcc_lo, s3, v3, vcc_lo
	v_and_or_b32 v6, 0x8000, v9, v6
	v_and_b32_e32 v4, 0xffff, v4
	v_lshl_or_b32 v4, v6, 16, v4
	v_lshrrev_b32_e32 v6, 16, v5
	global_store_dword v[2:3], v4, off
	global_load_dword v4, v28, s[12:13] offset:264
	s_waitcnt vmcnt(0)
	v_mul_f16_sdwa v7, v6, v4 dst_sel:DWORD dst_unused:UNUSED_PAD src0_sel:DWORD src1_sel:WORD_1
	v_mul_f16_sdwa v8, v5, v4 dst_sel:DWORD dst_unused:UNUSED_PAD src0_sel:DWORD src1_sel:WORD_1
	v_fmac_f16_e32 v7, v5, v4
	v_fma_f16 v4, v4, v6, -v8
	v_cvt_f32_f16_e32 v5, v7
	v_cvt_f32_f16_e32 v6, v4
	v_cvt_f64_f32_e32 v[4:5], v5
	v_cvt_f64_f32_e32 v[6:7], v6
	v_mul_f64 v[4:5], v[4:5], s[8:9]
	v_mul_f64 v[6:7], v[6:7], s[8:9]
	v_and_or_b32 v4, 0x1ff, v5, v4
	v_and_or_b32 v6, 0x1ff, v7, v6
	v_lshrrev_b32_e32 v8, 8, v5
	v_bfe_u32 v9, v5, 20, 11
	v_lshrrev_b32_e32 v10, 8, v7
	v_cmp_ne_u32_e32 vcc_lo, 0, v4
	v_bfe_u32 v11, v7, 20, 11
	v_lshrrev_b32_e32 v5, 16, v5
	v_sub_nc_u32_e32 v12, 0x3f1, v9
	v_add_nc_u32_e32 v9, 0xfffffc10, v9
	v_cndmask_b32_e64 v4, 0, 1, vcc_lo
	v_cmp_ne_u32_e32 vcc_lo, 0, v6
	v_lshrrev_b32_e32 v7, 16, v7
	v_and_or_b32 v4, 0xffe, v8, v4
	v_cndmask_b32_e64 v6, 0, 1, vcc_lo
	v_sub_nc_u32_e32 v8, 0x3f1, v11
	v_add_nc_u32_e32 v11, 0xfffffc10, v11
	v_and_or_b32 v6, 0xffe, v10, v6
	v_med3_i32 v10, v12, 0, 13
	v_or_b32_e32 v12, 0x1000, v4
	v_med3_i32 v8, v8, 0, 13
	v_or_b32_e32 v13, 0x1000, v6
	v_lshrrev_b32_e32 v14, v10, v12
	v_lshrrev_b32_e32 v15, v8, v13
	v_lshlrev_b32_e32 v10, v10, v14
	v_lshlrev_b32_e32 v8, v8, v15
	v_cmp_ne_u32_e32 vcc_lo, v10, v12
	v_lshl_or_b32 v12, v9, 12, v4
	v_cndmask_b32_e64 v10, 0, 1, vcc_lo
	v_cmp_ne_u32_e32 vcc_lo, v8, v13
	v_lshl_or_b32 v13, v11, 12, v6
	v_or_b32_e32 v10, v14, v10
	v_cndmask_b32_e64 v8, 0, 1, vcc_lo
	v_cmp_gt_i32_e32 vcc_lo, 1, v9
	v_or_b32_e32 v8, v15, v8
	v_cndmask_b32_e32 v10, v12, v10, vcc_lo
	v_cmp_gt_i32_e32 vcc_lo, 1, v11
	v_and_b32_e32 v12, 7, v10
	v_cndmask_b32_e32 v8, v13, v8, vcc_lo
	v_cmp_ne_u32_e32 vcc_lo, 0, v4
	v_lshrrev_b32_e32 v10, 2, v10
	v_cmp_eq_u32_e64 s0, 3, v12
	v_and_b32_e32 v13, 7, v8
	v_cndmask_b32_e64 v4, 0, 1, vcc_lo
	v_cmp_ne_u32_e32 vcc_lo, 0, v6
	v_lshrrev_b32_e32 v8, 2, v8
	v_cmp_lt_i32_e64 s1, 5, v13
	v_cmp_eq_u32_e64 s2, 3, v13
	v_cndmask_b32_e64 v6, 0, 1, vcc_lo
	v_cmp_lt_i32_e32 vcc_lo, 5, v12
	v_lshl_or_b32 v4, v4, 9, 0x7c00
	v_lshl_or_b32 v6, v6, 9, 0x7c00
	s_or_b32 vcc_lo, s0, vcc_lo
	v_add_co_ci_u32_e32 v10, vcc_lo, 0, v10, vcc_lo
	s_or_b32 vcc_lo, s2, s1
	v_add_co_ci_u32_e32 v8, vcc_lo, 0, v8, vcc_lo
	v_cmp_gt_i32_e32 vcc_lo, 31, v9
	v_cndmask_b32_e32 v10, 0x7c00, v10, vcc_lo
	v_cmp_gt_i32_e32 vcc_lo, 31, v11
	v_cndmask_b32_e32 v8, 0x7c00, v8, vcc_lo
	v_cmp_eq_u32_e32 vcc_lo, 0x40f, v9
	v_cndmask_b32_e32 v4, v10, v4, vcc_lo
	v_cmp_eq_u32_e32 vcc_lo, 0x40f, v11
	v_and_or_b32 v4, 0x8000, v5, v4
	v_cndmask_b32_e32 v6, v8, v6, vcc_lo
	v_add_co_u32 v2, vcc_lo, v2, s6
	v_add_co_ci_u32_e32 v3, vcc_lo, s3, v3, vcc_lo
	v_and_or_b32 v5, 0x8000, v7, v6
	v_and_b32_e32 v4, 0xffff, v4
	v_lshl_or_b32 v4, v5, 16, v4
	global_store_dword v[2:3], v4, off
	global_load_dword v6, v28, s[12:13] offset:308
	ds_read2_b32 v[4:5], v30 offset0:77 offset1:88
	s_waitcnt lgkmcnt(0)
	v_lshrrev_b32_e32 v7, 16, v4
	s_waitcnt vmcnt(0)
	v_mul_f16_sdwa v8, v7, v6 dst_sel:DWORD dst_unused:UNUSED_PAD src0_sel:DWORD src1_sel:WORD_1
	v_mul_f16_sdwa v9, v4, v6 dst_sel:DWORD dst_unused:UNUSED_PAD src0_sel:DWORD src1_sel:WORD_1
	v_fmac_f16_e32 v8, v4, v6
	v_fma_f16 v4, v6, v7, -v9
	v_cvt_f32_f16_e32 v6, v8
	v_cvt_f32_f16_e32 v4, v4
	v_cvt_f64_f32_e32 v[6:7], v6
	v_cvt_f64_f32_e32 v[8:9], v4
	v_mul_f64 v[6:7], v[6:7], s[8:9]
	v_mul_f64 v[8:9], v[8:9], s[8:9]
	v_and_or_b32 v4, 0x1ff, v7, v6
	v_and_or_b32 v8, 0x1ff, v9, v8
	v_lshrrev_b32_e32 v6, 8, v7
	v_bfe_u32 v10, v7, 20, 11
	v_lshrrev_b32_e32 v11, 8, v9
	v_cmp_ne_u32_e32 vcc_lo, 0, v4
	v_bfe_u32 v12, v9, 20, 11
	v_lshrrev_b32_e32 v7, 16, v7
	v_sub_nc_u32_e32 v13, 0x3f1, v10
	v_add_nc_u32_e32 v10, 0xfffffc10, v10
	v_cndmask_b32_e64 v4, 0, 1, vcc_lo
	v_cmp_ne_u32_e32 vcc_lo, 0, v8
	v_lshrrev_b32_e32 v9, 16, v9
	v_and_or_b32 v4, 0xffe, v6, v4
	v_cndmask_b32_e64 v8, 0, 1, vcc_lo
	v_sub_nc_u32_e32 v6, 0x3f1, v12
	v_add_nc_u32_e32 v12, 0xfffffc10, v12
	v_and_or_b32 v8, 0xffe, v11, v8
	v_med3_i32 v11, v13, 0, 13
	v_or_b32_e32 v13, 0x1000, v4
	v_med3_i32 v6, v6, 0, 13
	v_or_b32_e32 v14, 0x1000, v8
	v_lshrrev_b32_e32 v15, v11, v13
	v_lshrrev_b32_e32 v16, v6, v14
	v_lshlrev_b32_e32 v11, v11, v15
	v_lshlrev_b32_e32 v6, v6, v16
	v_cmp_ne_u32_e32 vcc_lo, v11, v13
	v_lshl_or_b32 v13, v10, 12, v4
	v_cndmask_b32_e64 v11, 0, 1, vcc_lo
	v_cmp_ne_u32_e32 vcc_lo, v6, v14
	v_lshl_or_b32 v14, v12, 12, v8
	v_or_b32_e32 v11, v15, v11
	v_cndmask_b32_e64 v6, 0, 1, vcc_lo
	v_cmp_gt_i32_e32 vcc_lo, 1, v10
	v_or_b32_e32 v6, v16, v6
	v_cndmask_b32_e32 v11, v13, v11, vcc_lo
	v_cmp_gt_i32_e32 vcc_lo, 1, v12
	v_and_b32_e32 v13, 7, v11
	v_cndmask_b32_e32 v6, v14, v6, vcc_lo
	v_cmp_ne_u32_e32 vcc_lo, 0, v4
	v_lshrrev_b32_e32 v11, 2, v11
	v_cmp_eq_u32_e64 s0, 3, v13
	v_and_b32_e32 v14, 7, v6
	v_cndmask_b32_e64 v4, 0, 1, vcc_lo
	v_cmp_ne_u32_e32 vcc_lo, 0, v8
	v_lshrrev_b32_e32 v6, 2, v6
	v_cmp_lt_i32_e64 s1, 5, v14
	v_cmp_eq_u32_e64 s2, 3, v14
	v_cndmask_b32_e64 v8, 0, 1, vcc_lo
	v_cmp_lt_i32_e32 vcc_lo, 5, v13
	v_lshl_or_b32 v4, v4, 9, 0x7c00
	v_lshl_or_b32 v8, v8, 9, 0x7c00
	s_or_b32 vcc_lo, s0, vcc_lo
	v_add_co_ci_u32_e32 v11, vcc_lo, 0, v11, vcc_lo
	s_or_b32 vcc_lo, s2, s1
	v_add_co_ci_u32_e32 v6, vcc_lo, 0, v6, vcc_lo
	v_cmp_gt_i32_e32 vcc_lo, 31, v10
	v_cndmask_b32_e32 v11, 0x7c00, v11, vcc_lo
	v_cmp_gt_i32_e32 vcc_lo, 31, v12
	v_cndmask_b32_e32 v6, 0x7c00, v6, vcc_lo
	v_cmp_eq_u32_e32 vcc_lo, 0x40f, v10
	v_cndmask_b32_e32 v4, v11, v4, vcc_lo
	v_cmp_eq_u32_e32 vcc_lo, 0x40f, v12
	v_and_or_b32 v4, 0x8000, v7, v4
	v_cndmask_b32_e32 v6, v6, v8, vcc_lo
	v_add_co_u32 v2, vcc_lo, v2, s6
	v_add_co_ci_u32_e32 v3, vcc_lo, s3, v3, vcc_lo
	v_and_or_b32 v6, 0x8000, v9, v6
	v_and_b32_e32 v4, 0xffff, v4
	v_lshl_or_b32 v4, v6, 16, v4
	v_lshrrev_b32_e32 v6, 16, v5
	global_store_dword v[2:3], v4, off
	global_load_dword v4, v28, s[12:13] offset:352
	s_waitcnt vmcnt(0)
	v_mul_f16_sdwa v7, v6, v4 dst_sel:DWORD dst_unused:UNUSED_PAD src0_sel:DWORD src1_sel:WORD_1
	v_mul_f16_sdwa v8, v5, v4 dst_sel:DWORD dst_unused:UNUSED_PAD src0_sel:DWORD src1_sel:WORD_1
	v_fmac_f16_e32 v7, v5, v4
	v_fma_f16 v4, v4, v6, -v8
	v_cvt_f32_f16_e32 v5, v7
	v_cvt_f32_f16_e32 v6, v4
	v_cvt_f64_f32_e32 v[4:5], v5
	v_cvt_f64_f32_e32 v[6:7], v6
	v_mul_f64 v[4:5], v[4:5], s[8:9]
	v_mul_f64 v[6:7], v[6:7], s[8:9]
	v_and_or_b32 v4, 0x1ff, v5, v4
	v_and_or_b32 v6, 0x1ff, v7, v6
	v_lshrrev_b32_e32 v8, 8, v5
	v_bfe_u32 v9, v5, 20, 11
	v_lshrrev_b32_e32 v10, 8, v7
	v_cmp_ne_u32_e32 vcc_lo, 0, v4
	v_bfe_u32 v11, v7, 20, 11
	v_lshrrev_b32_e32 v5, 16, v5
	v_sub_nc_u32_e32 v12, 0x3f1, v9
	v_add_nc_u32_e32 v9, 0xfffffc10, v9
	v_cndmask_b32_e64 v4, 0, 1, vcc_lo
	v_cmp_ne_u32_e32 vcc_lo, 0, v6
	v_lshrrev_b32_e32 v7, 16, v7
	v_and_or_b32 v4, 0xffe, v8, v4
	v_cndmask_b32_e64 v6, 0, 1, vcc_lo
	v_sub_nc_u32_e32 v8, 0x3f1, v11
	v_add_nc_u32_e32 v11, 0xfffffc10, v11
	v_and_or_b32 v6, 0xffe, v10, v6
	v_med3_i32 v10, v12, 0, 13
	v_or_b32_e32 v12, 0x1000, v4
	v_med3_i32 v8, v8, 0, 13
	v_or_b32_e32 v13, 0x1000, v6
	v_lshrrev_b32_e32 v14, v10, v12
	v_lshrrev_b32_e32 v15, v8, v13
	v_lshlrev_b32_e32 v10, v10, v14
	v_lshlrev_b32_e32 v8, v8, v15
	v_cmp_ne_u32_e32 vcc_lo, v10, v12
	v_lshl_or_b32 v12, v9, 12, v4
	v_cndmask_b32_e64 v10, 0, 1, vcc_lo
	v_cmp_ne_u32_e32 vcc_lo, v8, v13
	v_lshl_or_b32 v13, v11, 12, v6
	v_or_b32_e32 v10, v14, v10
	v_cndmask_b32_e64 v8, 0, 1, vcc_lo
	v_cmp_gt_i32_e32 vcc_lo, 1, v9
	v_or_b32_e32 v8, v15, v8
	v_cndmask_b32_e32 v10, v12, v10, vcc_lo
	v_cmp_gt_i32_e32 vcc_lo, 1, v11
	v_and_b32_e32 v12, 7, v10
	v_cndmask_b32_e32 v8, v13, v8, vcc_lo
	v_cmp_ne_u32_e32 vcc_lo, 0, v4
	v_lshrrev_b32_e32 v10, 2, v10
	v_cmp_eq_u32_e64 s0, 3, v12
	v_and_b32_e32 v13, 7, v8
	v_cndmask_b32_e64 v4, 0, 1, vcc_lo
	v_cmp_ne_u32_e32 vcc_lo, 0, v6
	v_lshrrev_b32_e32 v8, 2, v8
	v_cmp_lt_i32_e64 s1, 5, v13
	v_cmp_eq_u32_e64 s2, 3, v13
	v_cndmask_b32_e64 v6, 0, 1, vcc_lo
	v_cmp_lt_i32_e32 vcc_lo, 5, v12
	v_lshl_or_b32 v4, v4, 9, 0x7c00
	v_lshl_or_b32 v6, v6, 9, 0x7c00
	s_or_b32 vcc_lo, s0, vcc_lo
	v_add_co_ci_u32_e32 v10, vcc_lo, 0, v10, vcc_lo
	s_or_b32 vcc_lo, s2, s1
	v_add_co_ci_u32_e32 v8, vcc_lo, 0, v8, vcc_lo
	v_cmp_gt_i32_e32 vcc_lo, 31, v9
	v_cndmask_b32_e32 v10, 0x7c00, v10, vcc_lo
	v_cmp_gt_i32_e32 vcc_lo, 31, v11
	v_cndmask_b32_e32 v8, 0x7c00, v8, vcc_lo
	v_cmp_eq_u32_e32 vcc_lo, 0x40f, v9
	v_cndmask_b32_e32 v4, v10, v4, vcc_lo
	v_cmp_eq_u32_e32 vcc_lo, 0x40f, v11
	v_and_or_b32 v4, 0x8000, v5, v4
	v_cndmask_b32_e32 v6, v8, v6, vcc_lo
	v_add_co_u32 v2, vcc_lo, v2, s6
	v_add_co_ci_u32_e32 v3, vcc_lo, s3, v3, vcc_lo
	v_and_or_b32 v5, 0x8000, v7, v6
	v_and_b32_e32 v4, 0xffff, v4
	v_lshl_or_b32 v4, v5, 16, v4
	global_store_dword v[2:3], v4, off
	global_load_dword v6, v28, s[12:13] offset:396
	ds_read2_b32 v[4:5], v30 offset0:99 offset1:110
	s_waitcnt lgkmcnt(0)
	v_lshrrev_b32_e32 v7, 16, v4
	s_waitcnt vmcnt(0)
	v_mul_f16_sdwa v8, v7, v6 dst_sel:DWORD dst_unused:UNUSED_PAD src0_sel:DWORD src1_sel:WORD_1
	v_mul_f16_sdwa v9, v4, v6 dst_sel:DWORD dst_unused:UNUSED_PAD src0_sel:DWORD src1_sel:WORD_1
	v_fmac_f16_e32 v8, v4, v6
	v_fma_f16 v4, v6, v7, -v9
	v_cvt_f32_f16_e32 v6, v8
	v_cvt_f32_f16_e32 v4, v4
	v_cvt_f64_f32_e32 v[6:7], v6
	v_cvt_f64_f32_e32 v[8:9], v4
	v_mul_f64 v[6:7], v[6:7], s[8:9]
	v_mul_f64 v[8:9], v[8:9], s[8:9]
	v_and_or_b32 v4, 0x1ff, v7, v6
	v_and_or_b32 v8, 0x1ff, v9, v8
	v_lshrrev_b32_e32 v6, 8, v7
	v_bfe_u32 v10, v7, 20, 11
	v_lshrrev_b32_e32 v11, 8, v9
	v_cmp_ne_u32_e32 vcc_lo, 0, v4
	v_bfe_u32 v12, v9, 20, 11
	v_lshrrev_b32_e32 v7, 16, v7
	v_sub_nc_u32_e32 v13, 0x3f1, v10
	v_add_nc_u32_e32 v10, 0xfffffc10, v10
	v_cndmask_b32_e64 v4, 0, 1, vcc_lo
	v_cmp_ne_u32_e32 vcc_lo, 0, v8
	v_lshrrev_b32_e32 v9, 16, v9
	v_and_or_b32 v4, 0xffe, v6, v4
	v_cndmask_b32_e64 v8, 0, 1, vcc_lo
	v_sub_nc_u32_e32 v6, 0x3f1, v12
	v_add_nc_u32_e32 v12, 0xfffffc10, v12
	v_and_or_b32 v8, 0xffe, v11, v8
	v_med3_i32 v11, v13, 0, 13
	v_or_b32_e32 v13, 0x1000, v4
	v_med3_i32 v6, v6, 0, 13
	v_or_b32_e32 v14, 0x1000, v8
	v_lshrrev_b32_e32 v15, v11, v13
	v_lshrrev_b32_e32 v16, v6, v14
	v_lshlrev_b32_e32 v11, v11, v15
	v_lshlrev_b32_e32 v6, v6, v16
	v_cmp_ne_u32_e32 vcc_lo, v11, v13
	v_lshl_or_b32 v13, v10, 12, v4
	v_cndmask_b32_e64 v11, 0, 1, vcc_lo
	v_cmp_ne_u32_e32 vcc_lo, v6, v14
	v_lshl_or_b32 v14, v12, 12, v8
	v_or_b32_e32 v11, v15, v11
	v_cndmask_b32_e64 v6, 0, 1, vcc_lo
	v_cmp_gt_i32_e32 vcc_lo, 1, v10
	v_or_b32_e32 v6, v16, v6
	v_cndmask_b32_e32 v11, v13, v11, vcc_lo
	v_cmp_gt_i32_e32 vcc_lo, 1, v12
	v_and_b32_e32 v13, 7, v11
	v_cndmask_b32_e32 v6, v14, v6, vcc_lo
	v_cmp_ne_u32_e32 vcc_lo, 0, v4
	v_lshrrev_b32_e32 v11, 2, v11
	v_cmp_eq_u32_e64 s0, 3, v13
	v_and_b32_e32 v14, 7, v6
	v_cndmask_b32_e64 v4, 0, 1, vcc_lo
	v_cmp_ne_u32_e32 vcc_lo, 0, v8
	v_lshrrev_b32_e32 v6, 2, v6
	v_cmp_lt_i32_e64 s1, 5, v14
	v_cmp_eq_u32_e64 s2, 3, v14
	v_cndmask_b32_e64 v8, 0, 1, vcc_lo
	v_cmp_lt_i32_e32 vcc_lo, 5, v13
	v_lshl_or_b32 v4, v4, 9, 0x7c00
	v_lshl_or_b32 v8, v8, 9, 0x7c00
	s_or_b32 vcc_lo, s0, vcc_lo
	v_add_co_ci_u32_e32 v11, vcc_lo, 0, v11, vcc_lo
	s_or_b32 vcc_lo, s2, s1
	v_add_co_ci_u32_e32 v6, vcc_lo, 0, v6, vcc_lo
	v_cmp_gt_i32_e32 vcc_lo, 31, v10
	v_cndmask_b32_e32 v11, 0x7c00, v11, vcc_lo
	v_cmp_gt_i32_e32 vcc_lo, 31, v12
	v_cndmask_b32_e32 v6, 0x7c00, v6, vcc_lo
	v_cmp_eq_u32_e32 vcc_lo, 0x40f, v10
	v_cndmask_b32_e32 v4, v11, v4, vcc_lo
	v_cmp_eq_u32_e32 vcc_lo, 0x40f, v12
	v_and_or_b32 v4, 0x8000, v7, v4
	v_cndmask_b32_e32 v6, v6, v8, vcc_lo
	v_add_co_u32 v2, vcc_lo, v2, s6
	v_add_co_ci_u32_e32 v3, vcc_lo, s3, v3, vcc_lo
	v_and_or_b32 v6, 0x8000, v9, v6
	v_and_b32_e32 v4, 0xffff, v4
	v_lshl_or_b32 v4, v6, 16, v4
	v_lshrrev_b32_e32 v6, 16, v5
	global_store_dword v[2:3], v4, off
	global_load_dword v4, v28, s[12:13] offset:440
	s_waitcnt vmcnt(0)
	v_mul_f16_sdwa v7, v6, v4 dst_sel:DWORD dst_unused:UNUSED_PAD src0_sel:DWORD src1_sel:WORD_1
	v_mul_f16_sdwa v8, v5, v4 dst_sel:DWORD dst_unused:UNUSED_PAD src0_sel:DWORD src1_sel:WORD_1
	v_fmac_f16_e32 v7, v5, v4
	v_fma_f16 v4, v4, v6, -v8
	v_cvt_f32_f16_e32 v5, v7
	v_cvt_f32_f16_e32 v6, v4
	v_cvt_f64_f32_e32 v[4:5], v5
	v_cvt_f64_f32_e32 v[6:7], v6
	v_mul_f64 v[4:5], v[4:5], s[8:9]
	v_mul_f64 v[6:7], v[6:7], s[8:9]
	v_and_or_b32 v4, 0x1ff, v5, v4
	v_and_or_b32 v6, 0x1ff, v7, v6
	v_lshrrev_b32_e32 v8, 8, v5
	v_bfe_u32 v9, v5, 20, 11
	v_lshrrev_b32_e32 v10, 8, v7
	v_cmp_ne_u32_e32 vcc_lo, 0, v4
	v_bfe_u32 v11, v7, 20, 11
	v_lshrrev_b32_e32 v5, 16, v5
	v_sub_nc_u32_e32 v12, 0x3f1, v9
	v_add_nc_u32_e32 v9, 0xfffffc10, v9
	v_cndmask_b32_e64 v4, 0, 1, vcc_lo
	v_cmp_ne_u32_e32 vcc_lo, 0, v6
	v_lshrrev_b32_e32 v7, 16, v7
	v_and_or_b32 v4, 0xffe, v8, v4
	v_cndmask_b32_e64 v6, 0, 1, vcc_lo
	v_sub_nc_u32_e32 v8, 0x3f1, v11
	v_add_nc_u32_e32 v11, 0xfffffc10, v11
	v_and_or_b32 v6, 0xffe, v10, v6
	v_med3_i32 v10, v12, 0, 13
	v_or_b32_e32 v12, 0x1000, v4
	v_med3_i32 v8, v8, 0, 13
	v_or_b32_e32 v13, 0x1000, v6
	v_lshrrev_b32_e32 v14, v10, v12
	v_lshrrev_b32_e32 v15, v8, v13
	v_lshlrev_b32_e32 v10, v10, v14
	v_lshlrev_b32_e32 v8, v8, v15
	v_cmp_ne_u32_e32 vcc_lo, v10, v12
	v_lshl_or_b32 v12, v9, 12, v4
	v_cndmask_b32_e64 v10, 0, 1, vcc_lo
	v_cmp_ne_u32_e32 vcc_lo, v8, v13
	v_lshl_or_b32 v13, v11, 12, v6
	v_or_b32_e32 v10, v14, v10
	v_cndmask_b32_e64 v8, 0, 1, vcc_lo
	v_cmp_gt_i32_e32 vcc_lo, 1, v9
	v_or_b32_e32 v8, v15, v8
	v_cndmask_b32_e32 v10, v12, v10, vcc_lo
	v_cmp_gt_i32_e32 vcc_lo, 1, v11
	v_and_b32_e32 v12, 7, v10
	v_cndmask_b32_e32 v8, v13, v8, vcc_lo
	v_cmp_ne_u32_e32 vcc_lo, 0, v4
	v_lshrrev_b32_e32 v10, 2, v10
	v_cmp_eq_u32_e64 s0, 3, v12
	v_and_b32_e32 v13, 7, v8
	v_cndmask_b32_e64 v4, 0, 1, vcc_lo
	v_cmp_ne_u32_e32 vcc_lo, 0, v6
	v_lshrrev_b32_e32 v8, 2, v8
	v_cmp_lt_i32_e64 s1, 5, v13
	v_cmp_eq_u32_e64 s2, 3, v13
	v_cndmask_b32_e64 v6, 0, 1, vcc_lo
	v_cmp_lt_i32_e32 vcc_lo, 5, v12
	v_lshl_or_b32 v4, v4, 9, 0x7c00
	v_lshl_or_b32 v6, v6, 9, 0x7c00
	s_or_b32 vcc_lo, s0, vcc_lo
	v_add_co_ci_u32_e32 v10, vcc_lo, 0, v10, vcc_lo
	s_or_b32 vcc_lo, s2, s1
	v_add_co_ci_u32_e32 v8, vcc_lo, 0, v8, vcc_lo
	v_cmp_gt_i32_e32 vcc_lo, 31, v9
	v_cndmask_b32_e32 v10, 0x7c00, v10, vcc_lo
	v_cmp_gt_i32_e32 vcc_lo, 31, v11
	v_cndmask_b32_e32 v8, 0x7c00, v8, vcc_lo
	v_cmp_eq_u32_e32 vcc_lo, 0x40f, v9
	v_cndmask_b32_e32 v4, v10, v4, vcc_lo
	v_cmp_eq_u32_e32 vcc_lo, 0x40f, v11
	v_and_or_b32 v4, 0x8000, v5, v4
	v_cndmask_b32_e32 v6, v8, v6, vcc_lo
	v_add_co_u32 v2, vcc_lo, v2, s6
	v_add_co_ci_u32_e32 v3, vcc_lo, s3, v3, vcc_lo
	v_and_or_b32 v5, 0x8000, v7, v6
	v_and_b32_e32 v4, 0xffff, v4
	v_lshl_or_b32 v4, v5, 16, v4
	global_store_dword v[2:3], v4, off
	global_load_dword v6, v28, s[12:13] offset:484
	ds_read2_b32 v[4:5], v30 offset0:121 offset1:132
	s_waitcnt lgkmcnt(0)
	v_lshrrev_b32_e32 v7, 16, v4
	s_waitcnt vmcnt(0)
	v_mul_f16_sdwa v8, v7, v6 dst_sel:DWORD dst_unused:UNUSED_PAD src0_sel:DWORD src1_sel:WORD_1
	v_mul_f16_sdwa v9, v4, v6 dst_sel:DWORD dst_unused:UNUSED_PAD src0_sel:DWORD src1_sel:WORD_1
	v_fmac_f16_e32 v8, v4, v6
	v_fma_f16 v4, v6, v7, -v9
	v_cvt_f32_f16_e32 v6, v8
	v_cvt_f32_f16_e32 v4, v4
	v_cvt_f64_f32_e32 v[6:7], v6
	v_cvt_f64_f32_e32 v[8:9], v4
	v_mul_f64 v[6:7], v[6:7], s[8:9]
	v_mul_f64 v[8:9], v[8:9], s[8:9]
	v_and_or_b32 v4, 0x1ff, v7, v6
	v_and_or_b32 v8, 0x1ff, v9, v8
	v_lshrrev_b32_e32 v6, 8, v7
	v_bfe_u32 v10, v7, 20, 11
	v_lshrrev_b32_e32 v11, 8, v9
	v_cmp_ne_u32_e32 vcc_lo, 0, v4
	v_bfe_u32 v12, v9, 20, 11
	v_lshrrev_b32_e32 v7, 16, v7
	v_sub_nc_u32_e32 v13, 0x3f1, v10
	v_add_nc_u32_e32 v10, 0xfffffc10, v10
	v_cndmask_b32_e64 v4, 0, 1, vcc_lo
	v_cmp_ne_u32_e32 vcc_lo, 0, v8
	v_lshrrev_b32_e32 v9, 16, v9
	v_and_or_b32 v4, 0xffe, v6, v4
	v_cndmask_b32_e64 v8, 0, 1, vcc_lo
	v_sub_nc_u32_e32 v6, 0x3f1, v12
	v_add_nc_u32_e32 v12, 0xfffffc10, v12
	v_and_or_b32 v8, 0xffe, v11, v8
	v_med3_i32 v11, v13, 0, 13
	v_or_b32_e32 v13, 0x1000, v4
	v_med3_i32 v6, v6, 0, 13
	v_or_b32_e32 v14, 0x1000, v8
	v_lshrrev_b32_e32 v15, v11, v13
	v_lshrrev_b32_e32 v16, v6, v14
	v_lshlrev_b32_e32 v11, v11, v15
	v_lshlrev_b32_e32 v6, v6, v16
	v_cmp_ne_u32_e32 vcc_lo, v11, v13
	v_lshl_or_b32 v13, v10, 12, v4
	v_cndmask_b32_e64 v11, 0, 1, vcc_lo
	v_cmp_ne_u32_e32 vcc_lo, v6, v14
	v_lshl_or_b32 v14, v12, 12, v8
	v_or_b32_e32 v11, v15, v11
	v_cndmask_b32_e64 v6, 0, 1, vcc_lo
	v_cmp_gt_i32_e32 vcc_lo, 1, v10
	v_or_b32_e32 v6, v16, v6
	v_cndmask_b32_e32 v11, v13, v11, vcc_lo
	v_cmp_gt_i32_e32 vcc_lo, 1, v12
	v_and_b32_e32 v13, 7, v11
	v_cndmask_b32_e32 v6, v14, v6, vcc_lo
	v_cmp_ne_u32_e32 vcc_lo, 0, v4
	v_lshrrev_b32_e32 v11, 2, v11
	v_cmp_eq_u32_e64 s0, 3, v13
	v_and_b32_e32 v14, 7, v6
	v_cndmask_b32_e64 v4, 0, 1, vcc_lo
	v_cmp_ne_u32_e32 vcc_lo, 0, v8
	v_lshrrev_b32_e32 v6, 2, v6
	v_cmp_lt_i32_e64 s1, 5, v14
	v_cmp_eq_u32_e64 s2, 3, v14
	v_cndmask_b32_e64 v8, 0, 1, vcc_lo
	v_cmp_lt_i32_e32 vcc_lo, 5, v13
	v_lshl_or_b32 v4, v4, 9, 0x7c00
	v_lshl_or_b32 v8, v8, 9, 0x7c00
	s_or_b32 vcc_lo, s0, vcc_lo
	v_add_co_ci_u32_e32 v11, vcc_lo, 0, v11, vcc_lo
	s_or_b32 vcc_lo, s2, s1
	v_add_co_ci_u32_e32 v6, vcc_lo, 0, v6, vcc_lo
	v_cmp_gt_i32_e32 vcc_lo, 31, v10
	v_cndmask_b32_e32 v11, 0x7c00, v11, vcc_lo
	v_cmp_gt_i32_e32 vcc_lo, 31, v12
	v_cndmask_b32_e32 v6, 0x7c00, v6, vcc_lo
	v_cmp_eq_u32_e32 vcc_lo, 0x40f, v10
	v_cndmask_b32_e32 v4, v11, v4, vcc_lo
	v_cmp_eq_u32_e32 vcc_lo, 0x40f, v12
	v_and_or_b32 v4, 0x8000, v7, v4
	v_cndmask_b32_e32 v6, v6, v8, vcc_lo
	v_add_co_u32 v2, vcc_lo, v2, s6
	v_add_co_ci_u32_e32 v3, vcc_lo, s3, v3, vcc_lo
	v_and_or_b32 v6, 0x8000, v9, v6
	v_and_b32_e32 v4, 0xffff, v4
	v_lshl_or_b32 v4, v6, 16, v4
	v_lshrrev_b32_e32 v6, 16, v5
	global_store_dword v[2:3], v4, off
	global_load_dword v4, v28, s[12:13] offset:528
	s_waitcnt vmcnt(0)
	v_mul_f16_sdwa v7, v6, v4 dst_sel:DWORD dst_unused:UNUSED_PAD src0_sel:DWORD src1_sel:WORD_1
	v_mul_f16_sdwa v8, v5, v4 dst_sel:DWORD dst_unused:UNUSED_PAD src0_sel:DWORD src1_sel:WORD_1
	v_fmac_f16_e32 v7, v5, v4
	v_fma_f16 v4, v4, v6, -v8
	v_cvt_f32_f16_e32 v5, v7
	v_cvt_f32_f16_e32 v6, v4
	v_cvt_f64_f32_e32 v[4:5], v5
	v_cvt_f64_f32_e32 v[6:7], v6
	v_mul_f64 v[4:5], v[4:5], s[8:9]
	v_mul_f64 v[6:7], v[6:7], s[8:9]
	v_and_or_b32 v4, 0x1ff, v5, v4
	v_and_or_b32 v6, 0x1ff, v7, v6
	v_lshrrev_b32_e32 v8, 8, v5
	v_bfe_u32 v9, v5, 20, 11
	v_lshrrev_b32_e32 v10, 8, v7
	v_cmp_ne_u32_e32 vcc_lo, 0, v4
	v_bfe_u32 v11, v7, 20, 11
	v_lshrrev_b32_e32 v5, 16, v5
	v_sub_nc_u32_e32 v12, 0x3f1, v9
	v_add_nc_u32_e32 v9, 0xfffffc10, v9
	v_cndmask_b32_e64 v4, 0, 1, vcc_lo
	v_cmp_ne_u32_e32 vcc_lo, 0, v6
	v_lshrrev_b32_e32 v7, 16, v7
	v_and_or_b32 v4, 0xffe, v8, v4
	v_cndmask_b32_e64 v6, 0, 1, vcc_lo
	v_sub_nc_u32_e32 v8, 0x3f1, v11
	v_add_nc_u32_e32 v11, 0xfffffc10, v11
	v_and_or_b32 v6, 0xffe, v10, v6
	v_med3_i32 v10, v12, 0, 13
	v_or_b32_e32 v12, 0x1000, v4
	v_med3_i32 v8, v8, 0, 13
	v_or_b32_e32 v13, 0x1000, v6
	v_lshrrev_b32_e32 v14, v10, v12
	v_lshrrev_b32_e32 v15, v8, v13
	v_lshlrev_b32_e32 v10, v10, v14
	v_lshlrev_b32_e32 v8, v8, v15
	v_cmp_ne_u32_e32 vcc_lo, v10, v12
	v_lshl_or_b32 v12, v9, 12, v4
	v_cndmask_b32_e64 v10, 0, 1, vcc_lo
	v_cmp_ne_u32_e32 vcc_lo, v8, v13
	v_lshl_or_b32 v13, v11, 12, v6
	v_or_b32_e32 v10, v14, v10
	v_cndmask_b32_e64 v8, 0, 1, vcc_lo
	v_cmp_gt_i32_e32 vcc_lo, 1, v9
	v_or_b32_e32 v8, v15, v8
	v_cndmask_b32_e32 v10, v12, v10, vcc_lo
	v_cmp_gt_i32_e32 vcc_lo, 1, v11
	v_and_b32_e32 v12, 7, v10
	v_cndmask_b32_e32 v8, v13, v8, vcc_lo
	v_cmp_ne_u32_e32 vcc_lo, 0, v4
	v_lshrrev_b32_e32 v10, 2, v10
	v_cmp_eq_u32_e64 s0, 3, v12
	v_and_b32_e32 v13, 7, v8
	v_cndmask_b32_e64 v4, 0, 1, vcc_lo
	v_cmp_ne_u32_e32 vcc_lo, 0, v6
	v_lshrrev_b32_e32 v8, 2, v8
	v_cmp_lt_i32_e64 s1, 5, v13
	v_cmp_eq_u32_e64 s2, 3, v13
	v_cndmask_b32_e64 v6, 0, 1, vcc_lo
	v_cmp_lt_i32_e32 vcc_lo, 5, v12
	v_lshl_or_b32 v4, v4, 9, 0x7c00
	v_lshl_or_b32 v6, v6, 9, 0x7c00
	s_or_b32 vcc_lo, s0, vcc_lo
	v_add_co_ci_u32_e32 v10, vcc_lo, 0, v10, vcc_lo
	s_or_b32 vcc_lo, s2, s1
	v_add_co_ci_u32_e32 v8, vcc_lo, 0, v8, vcc_lo
	v_cmp_gt_i32_e32 vcc_lo, 31, v9
	v_cndmask_b32_e32 v10, 0x7c00, v10, vcc_lo
	v_cmp_gt_i32_e32 vcc_lo, 31, v11
	v_cndmask_b32_e32 v8, 0x7c00, v8, vcc_lo
	v_cmp_eq_u32_e32 vcc_lo, 0x40f, v9
	v_cndmask_b32_e32 v4, v10, v4, vcc_lo
	v_cmp_eq_u32_e32 vcc_lo, 0x40f, v11
	v_and_or_b32 v4, 0x8000, v5, v4
	v_cndmask_b32_e32 v6, v8, v6, vcc_lo
	v_add_co_u32 v2, vcc_lo, v2, s6
	v_add_co_ci_u32_e32 v3, vcc_lo, s3, v3, vcc_lo
	v_and_or_b32 v5, 0x8000, v7, v6
	v_and_b32_e32 v4, 0xffff, v4
	v_lshl_or_b32 v4, v5, 16, v4
	global_store_dword v[2:3], v4, off
	global_load_dword v6, v28, s[12:13] offset:572
	ds_read2_b32 v[4:5], v30 offset0:143 offset1:154
	s_waitcnt lgkmcnt(0)
	v_lshrrev_b32_e32 v7, 16, v4
	s_waitcnt vmcnt(0)
	v_mul_f16_sdwa v8, v7, v6 dst_sel:DWORD dst_unused:UNUSED_PAD src0_sel:DWORD src1_sel:WORD_1
	v_mul_f16_sdwa v9, v4, v6 dst_sel:DWORD dst_unused:UNUSED_PAD src0_sel:DWORD src1_sel:WORD_1
	v_fmac_f16_e32 v8, v4, v6
	v_fma_f16 v4, v6, v7, -v9
	v_cvt_f32_f16_e32 v6, v8
	v_cvt_f32_f16_e32 v4, v4
	v_cvt_f64_f32_e32 v[6:7], v6
	v_cvt_f64_f32_e32 v[8:9], v4
	v_mul_f64 v[6:7], v[6:7], s[8:9]
	v_mul_f64 v[8:9], v[8:9], s[8:9]
	v_and_or_b32 v4, 0x1ff, v7, v6
	v_and_or_b32 v8, 0x1ff, v9, v8
	v_lshrrev_b32_e32 v6, 8, v7
	v_bfe_u32 v10, v7, 20, 11
	v_lshrrev_b32_e32 v11, 8, v9
	v_cmp_ne_u32_e32 vcc_lo, 0, v4
	v_bfe_u32 v12, v9, 20, 11
	v_lshrrev_b32_e32 v7, 16, v7
	v_sub_nc_u32_e32 v13, 0x3f1, v10
	v_add_nc_u32_e32 v10, 0xfffffc10, v10
	v_cndmask_b32_e64 v4, 0, 1, vcc_lo
	v_cmp_ne_u32_e32 vcc_lo, 0, v8
	v_lshrrev_b32_e32 v9, 16, v9
	v_and_or_b32 v4, 0xffe, v6, v4
	v_cndmask_b32_e64 v8, 0, 1, vcc_lo
	v_sub_nc_u32_e32 v6, 0x3f1, v12
	v_add_nc_u32_e32 v12, 0xfffffc10, v12
	v_and_or_b32 v8, 0xffe, v11, v8
	v_med3_i32 v11, v13, 0, 13
	v_or_b32_e32 v13, 0x1000, v4
	v_med3_i32 v6, v6, 0, 13
	v_or_b32_e32 v14, 0x1000, v8
	v_lshrrev_b32_e32 v15, v11, v13
	v_lshrrev_b32_e32 v16, v6, v14
	v_lshlrev_b32_e32 v11, v11, v15
	v_lshlrev_b32_e32 v6, v6, v16
	v_cmp_ne_u32_e32 vcc_lo, v11, v13
	v_lshl_or_b32 v13, v10, 12, v4
	v_cndmask_b32_e64 v11, 0, 1, vcc_lo
	v_cmp_ne_u32_e32 vcc_lo, v6, v14
	v_lshl_or_b32 v14, v12, 12, v8
	v_or_b32_e32 v11, v15, v11
	v_cndmask_b32_e64 v6, 0, 1, vcc_lo
	v_cmp_gt_i32_e32 vcc_lo, 1, v10
	v_or_b32_e32 v6, v16, v6
	v_cndmask_b32_e32 v11, v13, v11, vcc_lo
	v_cmp_gt_i32_e32 vcc_lo, 1, v12
	v_and_b32_e32 v13, 7, v11
	v_cndmask_b32_e32 v6, v14, v6, vcc_lo
	v_cmp_ne_u32_e32 vcc_lo, 0, v4
	v_lshrrev_b32_e32 v11, 2, v11
	v_cmp_eq_u32_e64 s0, 3, v13
	v_and_b32_e32 v14, 7, v6
	v_cndmask_b32_e64 v4, 0, 1, vcc_lo
	v_cmp_ne_u32_e32 vcc_lo, 0, v8
	v_lshrrev_b32_e32 v6, 2, v6
	v_cmp_lt_i32_e64 s1, 5, v14
	v_cmp_eq_u32_e64 s2, 3, v14
	v_cndmask_b32_e64 v8, 0, 1, vcc_lo
	v_cmp_lt_i32_e32 vcc_lo, 5, v13
	v_lshl_or_b32 v4, v4, 9, 0x7c00
	v_lshl_or_b32 v8, v8, 9, 0x7c00
	s_or_b32 vcc_lo, s0, vcc_lo
	v_add_co_ci_u32_e32 v11, vcc_lo, 0, v11, vcc_lo
	s_or_b32 vcc_lo, s2, s1
	v_add_co_ci_u32_e32 v6, vcc_lo, 0, v6, vcc_lo
	v_cmp_gt_i32_e32 vcc_lo, 31, v10
	v_cndmask_b32_e32 v11, 0x7c00, v11, vcc_lo
	v_cmp_gt_i32_e32 vcc_lo, 31, v12
	v_cndmask_b32_e32 v6, 0x7c00, v6, vcc_lo
	v_cmp_eq_u32_e32 vcc_lo, 0x40f, v10
	v_cndmask_b32_e32 v4, v11, v4, vcc_lo
	v_cmp_eq_u32_e32 vcc_lo, 0x40f, v12
	v_and_or_b32 v4, 0x8000, v7, v4
	v_cndmask_b32_e32 v6, v6, v8, vcc_lo
	v_add_co_u32 v2, vcc_lo, v2, s6
	v_add_co_ci_u32_e32 v3, vcc_lo, s3, v3, vcc_lo
	v_and_or_b32 v6, 0x8000, v9, v6
	v_and_b32_e32 v4, 0xffff, v4
	v_lshl_or_b32 v4, v6, 16, v4
	v_lshrrev_b32_e32 v6, 16, v5
	global_store_dword v[2:3], v4, off
	global_load_dword v4, v28, s[12:13] offset:616
	s_waitcnt vmcnt(0)
	v_mul_f16_sdwa v7, v6, v4 dst_sel:DWORD dst_unused:UNUSED_PAD src0_sel:DWORD src1_sel:WORD_1
	v_mul_f16_sdwa v8, v5, v4 dst_sel:DWORD dst_unused:UNUSED_PAD src0_sel:DWORD src1_sel:WORD_1
	v_fmac_f16_e32 v7, v5, v4
	v_fma_f16 v4, v4, v6, -v8
	v_cvt_f32_f16_e32 v5, v7
	v_cvt_f32_f16_e32 v6, v4
	v_cvt_f64_f32_e32 v[4:5], v5
	v_cvt_f64_f32_e32 v[6:7], v6
	v_mul_f64 v[4:5], v[4:5], s[8:9]
	v_mul_f64 v[6:7], v[6:7], s[8:9]
	v_and_or_b32 v4, 0x1ff, v5, v4
	v_and_or_b32 v6, 0x1ff, v7, v6
	v_lshrrev_b32_e32 v8, 8, v5
	v_bfe_u32 v9, v5, 20, 11
	v_lshrrev_b32_e32 v10, 8, v7
	v_cmp_ne_u32_e32 vcc_lo, 0, v4
	v_bfe_u32 v11, v7, 20, 11
	v_lshrrev_b32_e32 v5, 16, v5
	v_sub_nc_u32_e32 v12, 0x3f1, v9
	v_add_nc_u32_e32 v9, 0xfffffc10, v9
	v_cndmask_b32_e64 v4, 0, 1, vcc_lo
	v_cmp_ne_u32_e32 vcc_lo, 0, v6
	v_lshrrev_b32_e32 v7, 16, v7
	v_and_or_b32 v4, 0xffe, v8, v4
	v_cndmask_b32_e64 v6, 0, 1, vcc_lo
	v_sub_nc_u32_e32 v8, 0x3f1, v11
	v_add_nc_u32_e32 v11, 0xfffffc10, v11
	v_and_or_b32 v6, 0xffe, v10, v6
	v_med3_i32 v10, v12, 0, 13
	v_or_b32_e32 v12, 0x1000, v4
	v_med3_i32 v8, v8, 0, 13
	v_or_b32_e32 v13, 0x1000, v6
	v_lshrrev_b32_e32 v14, v10, v12
	v_lshrrev_b32_e32 v15, v8, v13
	v_lshlrev_b32_e32 v10, v10, v14
	v_lshlrev_b32_e32 v8, v8, v15
	v_cmp_ne_u32_e32 vcc_lo, v10, v12
	v_lshl_or_b32 v12, v9, 12, v4
	v_cndmask_b32_e64 v10, 0, 1, vcc_lo
	v_cmp_ne_u32_e32 vcc_lo, v8, v13
	v_lshl_or_b32 v13, v11, 12, v6
	v_or_b32_e32 v10, v14, v10
	v_cndmask_b32_e64 v8, 0, 1, vcc_lo
	v_cmp_gt_i32_e32 vcc_lo, 1, v9
	v_or_b32_e32 v8, v15, v8
	v_cndmask_b32_e32 v10, v12, v10, vcc_lo
	v_cmp_gt_i32_e32 vcc_lo, 1, v11
	v_and_b32_e32 v12, 7, v10
	v_cndmask_b32_e32 v8, v13, v8, vcc_lo
	v_cmp_ne_u32_e32 vcc_lo, 0, v4
	v_lshrrev_b32_e32 v10, 2, v10
	v_cmp_eq_u32_e64 s0, 3, v12
	v_and_b32_e32 v13, 7, v8
	v_cndmask_b32_e64 v4, 0, 1, vcc_lo
	v_cmp_ne_u32_e32 vcc_lo, 0, v6
	v_lshrrev_b32_e32 v8, 2, v8
	v_cmp_lt_i32_e64 s1, 5, v13
	v_cmp_eq_u32_e64 s2, 3, v13
	v_cndmask_b32_e64 v6, 0, 1, vcc_lo
	v_cmp_lt_i32_e32 vcc_lo, 5, v12
	v_lshl_or_b32 v4, v4, 9, 0x7c00
	v_lshl_or_b32 v6, v6, 9, 0x7c00
	s_or_b32 vcc_lo, s0, vcc_lo
	v_add_co_ci_u32_e32 v10, vcc_lo, 0, v10, vcc_lo
	s_or_b32 vcc_lo, s2, s1
	v_add_co_ci_u32_e32 v8, vcc_lo, 0, v8, vcc_lo
	v_cmp_gt_i32_e32 vcc_lo, 31, v9
	v_cndmask_b32_e32 v10, 0x7c00, v10, vcc_lo
	v_cmp_gt_i32_e32 vcc_lo, 31, v11
	v_cndmask_b32_e32 v8, 0x7c00, v8, vcc_lo
	v_cmp_eq_u32_e32 vcc_lo, 0x40f, v9
	v_cndmask_b32_e32 v4, v10, v4, vcc_lo
	v_cmp_eq_u32_e32 vcc_lo, 0x40f, v11
	v_and_or_b32 v4, 0x8000, v5, v4
	v_cndmask_b32_e32 v6, v8, v6, vcc_lo
	v_add_co_u32 v2, vcc_lo, v2, s6
	v_add_co_ci_u32_e32 v3, vcc_lo, s3, v3, vcc_lo
	v_and_or_b32 v5, 0x8000, v7, v6
	v_and_b32_e32 v4, 0xffff, v4
	v_lshl_or_b32 v4, v5, 16, v4
	global_store_dword v[2:3], v4, off
	global_load_dword v6, v28, s[12:13] offset:660
	ds_read2_b32 v[4:5], v30 offset0:165 offset1:176
	s_waitcnt lgkmcnt(0)
	v_lshrrev_b32_e32 v7, 16, v4
	s_waitcnt vmcnt(0)
	v_mul_f16_sdwa v8, v7, v6 dst_sel:DWORD dst_unused:UNUSED_PAD src0_sel:DWORD src1_sel:WORD_1
	v_mul_f16_sdwa v9, v4, v6 dst_sel:DWORD dst_unused:UNUSED_PAD src0_sel:DWORD src1_sel:WORD_1
	v_fmac_f16_e32 v8, v4, v6
	v_fma_f16 v4, v6, v7, -v9
	v_cvt_f32_f16_e32 v6, v8
	v_cvt_f32_f16_e32 v4, v4
	v_cvt_f64_f32_e32 v[6:7], v6
	v_cvt_f64_f32_e32 v[8:9], v4
	v_mul_f64 v[6:7], v[6:7], s[8:9]
	v_mul_f64 v[8:9], v[8:9], s[8:9]
	v_and_or_b32 v4, 0x1ff, v7, v6
	v_and_or_b32 v8, 0x1ff, v9, v8
	v_lshrrev_b32_e32 v6, 8, v7
	v_bfe_u32 v10, v7, 20, 11
	v_lshrrev_b32_e32 v11, 8, v9
	v_cmp_ne_u32_e32 vcc_lo, 0, v4
	v_bfe_u32 v12, v9, 20, 11
	v_lshrrev_b32_e32 v7, 16, v7
	v_sub_nc_u32_e32 v13, 0x3f1, v10
	v_add_nc_u32_e32 v10, 0xfffffc10, v10
	v_cndmask_b32_e64 v4, 0, 1, vcc_lo
	v_cmp_ne_u32_e32 vcc_lo, 0, v8
	v_lshrrev_b32_e32 v9, 16, v9
	v_and_or_b32 v4, 0xffe, v6, v4
	v_cndmask_b32_e64 v8, 0, 1, vcc_lo
	v_sub_nc_u32_e32 v6, 0x3f1, v12
	v_add_nc_u32_e32 v12, 0xfffffc10, v12
	v_and_or_b32 v8, 0xffe, v11, v8
	v_med3_i32 v11, v13, 0, 13
	v_or_b32_e32 v13, 0x1000, v4
	v_med3_i32 v6, v6, 0, 13
	v_or_b32_e32 v14, 0x1000, v8
	v_lshrrev_b32_e32 v15, v11, v13
	v_lshrrev_b32_e32 v16, v6, v14
	v_lshlrev_b32_e32 v11, v11, v15
	v_lshlrev_b32_e32 v6, v6, v16
	v_cmp_ne_u32_e32 vcc_lo, v11, v13
	v_lshl_or_b32 v13, v10, 12, v4
	v_cndmask_b32_e64 v11, 0, 1, vcc_lo
	v_cmp_ne_u32_e32 vcc_lo, v6, v14
	v_lshl_or_b32 v14, v12, 12, v8
	v_or_b32_e32 v11, v15, v11
	v_cndmask_b32_e64 v6, 0, 1, vcc_lo
	v_cmp_gt_i32_e32 vcc_lo, 1, v10
	v_or_b32_e32 v6, v16, v6
	v_cndmask_b32_e32 v11, v13, v11, vcc_lo
	v_cmp_gt_i32_e32 vcc_lo, 1, v12
	v_and_b32_e32 v13, 7, v11
	v_cndmask_b32_e32 v6, v14, v6, vcc_lo
	v_cmp_ne_u32_e32 vcc_lo, 0, v4
	v_lshrrev_b32_e32 v11, 2, v11
	v_cmp_eq_u32_e64 s0, 3, v13
	v_and_b32_e32 v14, 7, v6
	v_cndmask_b32_e64 v4, 0, 1, vcc_lo
	v_cmp_ne_u32_e32 vcc_lo, 0, v8
	v_lshrrev_b32_e32 v6, 2, v6
	v_cmp_lt_i32_e64 s1, 5, v14
	v_cmp_eq_u32_e64 s2, 3, v14
	v_cndmask_b32_e64 v8, 0, 1, vcc_lo
	v_cmp_lt_i32_e32 vcc_lo, 5, v13
	v_lshl_or_b32 v4, v4, 9, 0x7c00
	v_lshl_or_b32 v8, v8, 9, 0x7c00
	s_or_b32 vcc_lo, s0, vcc_lo
	v_add_co_ci_u32_e32 v11, vcc_lo, 0, v11, vcc_lo
	s_or_b32 vcc_lo, s2, s1
	v_add_co_ci_u32_e32 v6, vcc_lo, 0, v6, vcc_lo
	v_cmp_gt_i32_e32 vcc_lo, 31, v10
	v_cndmask_b32_e32 v11, 0x7c00, v11, vcc_lo
	v_cmp_gt_i32_e32 vcc_lo, 31, v12
	v_cndmask_b32_e32 v6, 0x7c00, v6, vcc_lo
	v_cmp_eq_u32_e32 vcc_lo, 0x40f, v10
	v_cndmask_b32_e32 v4, v11, v4, vcc_lo
	v_cmp_eq_u32_e32 vcc_lo, 0x40f, v12
	v_and_or_b32 v4, 0x8000, v7, v4
	v_cndmask_b32_e32 v6, v6, v8, vcc_lo
	v_add_co_u32 v2, vcc_lo, v2, s6
	v_add_co_ci_u32_e32 v3, vcc_lo, s3, v3, vcc_lo
	v_and_or_b32 v6, 0x8000, v9, v6
	v_and_b32_e32 v4, 0xffff, v4
	v_lshl_or_b32 v4, v6, 16, v4
	global_store_dword v[2:3], v4, off
	global_load_dword v2, v28, s[12:13] offset:704
	v_lshrrev_b32_e32 v3, 16, v5
	s_waitcnt vmcnt(0)
	v_mul_f16_sdwa v4, v3, v2 dst_sel:DWORD dst_unused:UNUSED_PAD src0_sel:DWORD src1_sel:WORD_1
	v_mul_f16_sdwa v6, v5, v2 dst_sel:DWORD dst_unused:UNUSED_PAD src0_sel:DWORD src1_sel:WORD_1
	v_fmac_f16_e32 v4, v5, v2
	v_fma_f16 v2, v2, v3, -v6
	v_cvt_f32_f16_e32 v3, v4
	v_cvt_f32_f16_e32 v4, v2
	v_cvt_f64_f32_e32 v[2:3], v3
	v_cvt_f64_f32_e32 v[4:5], v4
	v_mul_f64 v[2:3], v[2:3], s[8:9]
	v_mul_f64 v[4:5], v[4:5], s[8:9]
	v_and_or_b32 v2, 0x1ff, v3, v2
	v_and_or_b32 v4, 0x1ff, v5, v4
	v_lshrrev_b32_e32 v6, 8, v3
	v_bfe_u32 v8, v3, 20, 11
	v_bfe_u32 v9, v5, 20, 11
	v_cmp_ne_u32_e32 vcc_lo, 0, v2
	v_lshrrev_b32_e32 v7, 8, v5
	v_lshrrev_b32_e32 v5, 16, v5
	v_sub_nc_u32_e32 v10, 0x3f1, v8
	v_sub_nc_u32_e32 v11, 0x3f1, v9
	v_cndmask_b32_e64 v2, 0, 1, vcc_lo
	v_cmp_ne_u32_e32 vcc_lo, 0, v4
	v_add_nc_u32_e32 v9, 0xfffffc10, v9
	v_and_or_b32 v12, 0xffe, v6, v2
	v_cndmask_b32_e64 v4, 0, 1, vcc_lo
	v_med3_i32 v2, v10, 0, 13
	v_med3_i32 v10, v11, 0, 13
	v_or_b32_e32 v11, 0x1000, v12
	v_and_or_b32 v4, 0xffe, v7, v4
	v_mad_u64_u32 v[6:7], null, s4, v27, 0
	v_lshrrev_b32_e32 v14, v2, v11
	v_or_b32_e32 v13, 0x1000, v4
	v_lshlrev_b32_e32 v16, v2, v14
	v_lshrrev_b32_e32 v15, v10, v13
	v_mov_b32_e32 v2, v7
	v_cmp_ne_u32_e32 vcc_lo, v16, v11
	v_lshlrev_b32_e32 v7, v10, v15
	v_add_nc_u32_e32 v10, 0xfffffc10, v8
	v_cndmask_b32_e64 v11, 0, 1, vcc_lo
	v_cmp_ne_u32_e32 vcc_lo, v7, v13
	v_mad_u64_u32 v[7:8], null, s5, v27, v[2:3]
	v_lshl_or_b32 v2, v10, 12, v12
	v_or_b32_e32 v8, v14, v11
	v_cndmask_b32_e64 v13, 0, 1, vcc_lo
	v_cmp_gt_i32_e32 vcc_lo, 1, v10
	v_lshl_or_b32 v11, v9, 12, v4
	v_lshrrev_b32_e32 v3, 16, v3
	v_or_b32_e32 v13, v15, v13
	v_cndmask_b32_e32 v2, v2, v8, vcc_lo
	v_cmp_gt_i32_e32 vcc_lo, 1, v9
	v_cndmask_b32_e32 v8, v11, v13, vcc_lo
	v_cmp_ne_u32_e32 vcc_lo, 0, v12
	v_and_b32_e32 v12, 7, v2
	v_lshrrev_b32_e32 v2, 2, v2
	v_and_b32_e32 v13, 7, v8
	v_cndmask_b32_e64 v11, 0, 1, vcc_lo
	v_cmp_ne_u32_e32 vcc_lo, 0, v4
	v_cmp_eq_u32_e64 s0, 3, v12
	v_lshrrev_b32_e32 v8, 2, v8
	v_cmp_lt_i32_e64 s1, 5, v13
	v_cmp_eq_u32_e64 s2, 3, v13
	v_cndmask_b32_e64 v4, 0, 1, vcc_lo
	v_cmp_lt_i32_e32 vcc_lo, 5, v12
	v_lshl_or_b32 v11, v11, 9, 0x7c00
	v_lshl_or_b32 v4, v4, 9, 0x7c00
	s_or_b32 vcc_lo, s0, vcc_lo
	v_add_co_ci_u32_e32 v2, vcc_lo, 0, v2, vcc_lo
	s_or_b32 vcc_lo, s2, s1
	v_add_co_ci_u32_e32 v8, vcc_lo, 0, v8, vcc_lo
	v_cmp_gt_i32_e32 vcc_lo, 31, v10
	v_cndmask_b32_e32 v2, 0x7c00, v2, vcc_lo
	v_cmp_gt_i32_e32 vcc_lo, 31, v9
	v_cndmask_b32_e32 v8, 0x7c00, v8, vcc_lo
	v_cmp_eq_u32_e32 vcc_lo, 0x40f, v10
	v_cndmask_b32_e32 v2, v2, v11, vcc_lo
	v_cmp_eq_u32_e32 vcc_lo, 0x40f, v9
	v_and_or_b32 v2, 0x8000, v3, v2
	v_cndmask_b32_e32 v4, v8, v4, vcc_lo
	v_and_or_b32 v4, 0x8000, v5, v4
	v_and_b32_e32 v5, 0xffff, v2
	v_lshlrev_b64 v[2:3], 2, v[6:7]
	v_lshl_or_b32 v4, v4, 16, v5
	v_add_co_u32 v0, vcc_lo, v0, v2
	v_add_co_ci_u32_e32 v1, vcc_lo, v1, v3, vcc_lo
	global_store_dword v[0:1], v4, off
.LBB0_15:
	s_endpgm
	.section	.rodata,"a",@progbits
	.p2align	6, 0x0
	.amdhsa_kernel bluestein_single_back_len187_dim1_half_op_CI_CI
		.amdhsa_group_segment_fixed_size 5236
		.amdhsa_private_segment_fixed_size 0
		.amdhsa_kernarg_size 104
		.amdhsa_user_sgpr_count 6
		.amdhsa_user_sgpr_private_segment_buffer 1
		.amdhsa_user_sgpr_dispatch_ptr 0
		.amdhsa_user_sgpr_queue_ptr 0
		.amdhsa_user_sgpr_kernarg_segment_ptr 1
		.amdhsa_user_sgpr_dispatch_id 0
		.amdhsa_user_sgpr_flat_scratch_init 0
		.amdhsa_user_sgpr_private_segment_size 0
		.amdhsa_wavefront_size32 1
		.amdhsa_uses_dynamic_stack 0
		.amdhsa_system_sgpr_private_segment_wavefront_offset 0
		.amdhsa_system_sgpr_workgroup_id_x 1
		.amdhsa_system_sgpr_workgroup_id_y 0
		.amdhsa_system_sgpr_workgroup_id_z 0
		.amdhsa_system_sgpr_workgroup_info 0
		.amdhsa_system_vgpr_workitem_id 0
		.amdhsa_next_free_vgpr 215
		.amdhsa_next_free_sgpr 16
		.amdhsa_reserve_vcc 1
		.amdhsa_reserve_flat_scratch 0
		.amdhsa_float_round_mode_32 0
		.amdhsa_float_round_mode_16_64 0
		.amdhsa_float_denorm_mode_32 3
		.amdhsa_float_denorm_mode_16_64 3
		.amdhsa_dx10_clamp 1
		.amdhsa_ieee_mode 1
		.amdhsa_fp16_overflow 0
		.amdhsa_workgroup_processor_mode 1
		.amdhsa_memory_ordered 1
		.amdhsa_forward_progress 0
		.amdhsa_shared_vgpr_count 0
		.amdhsa_exception_fp_ieee_invalid_op 0
		.amdhsa_exception_fp_denorm_src 0
		.amdhsa_exception_fp_ieee_div_zero 0
		.amdhsa_exception_fp_ieee_overflow 0
		.amdhsa_exception_fp_ieee_underflow 0
		.amdhsa_exception_fp_ieee_inexact 0
		.amdhsa_exception_int_div_zero 0
	.end_amdhsa_kernel
	.text
.Lfunc_end0:
	.size	bluestein_single_back_len187_dim1_half_op_CI_CI, .Lfunc_end0-bluestein_single_back_len187_dim1_half_op_CI_CI
                                        ; -- End function
	.section	.AMDGPU.csdata,"",@progbits
; Kernel info:
; codeLenInByte = 28120
; NumSgprs: 18
; NumVgprs: 215
; ScratchSize: 0
; MemoryBound: 0
; FloatMode: 240
; IeeeMode: 1
; LDSByteSize: 5236 bytes/workgroup (compile time only)
; SGPRBlocks: 2
; VGPRBlocks: 26
; NumSGPRsForWavesPerEU: 18
; NumVGPRsForWavesPerEU: 215
; Occupancy: 4
; WaveLimiterHint : 1
; COMPUTE_PGM_RSRC2:SCRATCH_EN: 0
; COMPUTE_PGM_RSRC2:USER_SGPR: 6
; COMPUTE_PGM_RSRC2:TRAP_HANDLER: 0
; COMPUTE_PGM_RSRC2:TGID_X_EN: 1
; COMPUTE_PGM_RSRC2:TGID_Y_EN: 0
; COMPUTE_PGM_RSRC2:TGID_Z_EN: 0
; COMPUTE_PGM_RSRC2:TIDIG_COMP_CNT: 0
	.text
	.p2alignl 6, 3214868480
	.fill 48, 4, 3214868480
	.type	__hip_cuid_40b09e0ce897d268,@object ; @__hip_cuid_40b09e0ce897d268
	.section	.bss,"aw",@nobits
	.globl	__hip_cuid_40b09e0ce897d268
__hip_cuid_40b09e0ce897d268:
	.byte	0                               ; 0x0
	.size	__hip_cuid_40b09e0ce897d268, 1

	.ident	"AMD clang version 19.0.0git (https://github.com/RadeonOpenCompute/llvm-project roc-6.4.0 25133 c7fe45cf4b819c5991fe208aaa96edf142730f1d)"
	.section	".note.GNU-stack","",@progbits
	.addrsig
	.addrsig_sym __hip_cuid_40b09e0ce897d268
	.amdgpu_metadata
---
amdhsa.kernels:
  - .args:
      - .actual_access:  read_only
        .address_space:  global
        .offset:         0
        .size:           8
        .value_kind:     global_buffer
      - .actual_access:  read_only
        .address_space:  global
        .offset:         8
        .size:           8
        .value_kind:     global_buffer
      - .actual_access:  read_only
        .address_space:  global
        .offset:         16
        .size:           8
        .value_kind:     global_buffer
      - .actual_access:  read_only
        .address_space:  global
        .offset:         24
        .size:           8
        .value_kind:     global_buffer
      - .actual_access:  read_only
        .address_space:  global
        .offset:         32
        .size:           8
        .value_kind:     global_buffer
      - .offset:         40
        .size:           8
        .value_kind:     by_value
      - .address_space:  global
        .offset:         48
        .size:           8
        .value_kind:     global_buffer
      - .address_space:  global
        .offset:         56
        .size:           8
        .value_kind:     global_buffer
      - .address_space:  global
        .offset:         64
        .size:           8
        .value_kind:     global_buffer
      - .address_space:  global
        .offset:         72
        .size:           8
        .value_kind:     global_buffer
      - .offset:         80
        .size:           4
        .value_kind:     by_value
      - .address_space:  global
        .offset:         88
        .size:           8
        .value_kind:     global_buffer
      - .address_space:  global
        .offset:         96
        .size:           8
        .value_kind:     global_buffer
    .group_segment_fixed_size: 5236
    .kernarg_segment_align: 8
    .kernarg_segment_size: 104
    .language:       OpenCL C
    .language_version:
      - 2
      - 0
    .max_flat_workgroup_size: 119
    .name:           bluestein_single_back_len187_dim1_half_op_CI_CI
    .private_segment_fixed_size: 0
    .sgpr_count:     18
    .sgpr_spill_count: 0
    .symbol:         bluestein_single_back_len187_dim1_half_op_CI_CI.kd
    .uniform_work_group_size: 1
    .uses_dynamic_stack: false
    .vgpr_count:     215
    .vgpr_spill_count: 0
    .wavefront_size: 32
    .workgroup_processor_mode: 1
amdhsa.target:   amdgcn-amd-amdhsa--gfx1030
amdhsa.version:
  - 1
  - 2
...

	.end_amdgpu_metadata
